;; amdgpu-corpus repo=ROCm/composable_kernel kind=compiled arch=gfx942 opt=O3
	.text
	.amdgcn_target "amdgcn-amd-amdhsa--gfx942"
	.amdhsa_code_object_version 6
	.section	.text._ZN2ckL12flush_icacheEv,"axG",@progbits,_ZN2ckL12flush_icacheEv,comdat
	.globl	_ZN2ckL12flush_icacheEv         ; -- Begin function _ZN2ckL12flush_icacheEv
	.p2align	8
	.type	_ZN2ckL12flush_icacheEv,@function
_ZN2ckL12flush_icacheEv:                ; @_ZN2ckL12flush_icacheEv
; %bb.0:
	;;#ASMSTART
	s_icache_inv 
	s_nop 0 
	s_nop 0 
	;; [unrolled: 1-line block ×16, first 2 shown]
	
	;;#ASMEND
	s_endpgm
	.section	.rodata,"a",@progbits
	.p2align	6, 0x0
	.amdhsa_kernel _ZN2ckL12flush_icacheEv
		.amdhsa_group_segment_fixed_size 0
		.amdhsa_private_segment_fixed_size 0
		.amdhsa_kernarg_size 0
		.amdhsa_user_sgpr_count 0
		.amdhsa_user_sgpr_dispatch_ptr 0
		.amdhsa_user_sgpr_queue_ptr 0
		.amdhsa_user_sgpr_kernarg_segment_ptr 0
		.amdhsa_user_sgpr_dispatch_id 0
		.amdhsa_user_sgpr_kernarg_preload_length 0
		.amdhsa_user_sgpr_kernarg_preload_offset 0
		.amdhsa_user_sgpr_private_segment_size 0
		.amdhsa_uses_dynamic_stack 0
		.amdhsa_enable_private_segment 0
		.amdhsa_system_sgpr_workgroup_id_x 1
		.amdhsa_system_sgpr_workgroup_id_y 0
		.amdhsa_system_sgpr_workgroup_id_z 0
		.amdhsa_system_sgpr_workgroup_info 0
		.amdhsa_system_vgpr_workitem_id 0
		.amdhsa_next_free_vgpr 1
		.amdhsa_next_free_sgpr 0
		.amdhsa_accum_offset 4
		.amdhsa_reserve_vcc 0
		.amdhsa_float_round_mode_32 0
		.amdhsa_float_round_mode_16_64 0
		.amdhsa_float_denorm_mode_32 3
		.amdhsa_float_denorm_mode_16_64 3
		.amdhsa_dx10_clamp 1
		.amdhsa_ieee_mode 1
		.amdhsa_fp16_overflow 0
		.amdhsa_tg_split 0
		.amdhsa_exception_fp_ieee_invalid_op 0
		.amdhsa_exception_fp_denorm_src 0
		.amdhsa_exception_fp_ieee_div_zero 0
		.amdhsa_exception_fp_ieee_overflow 0
		.amdhsa_exception_fp_ieee_underflow 0
		.amdhsa_exception_fp_ieee_inexact 0
		.amdhsa_exception_int_div_zero 0
	.end_amdhsa_kernel
	.section	.text._ZN2ckL12flush_icacheEv,"axG",@progbits,_ZN2ckL12flush_icacheEv,comdat
.Lfunc_end0:
	.size	_ZN2ckL12flush_icacheEv, .Lfunc_end0-_ZN2ckL12flush_icacheEv
                                        ; -- End function
	.section	.AMDGPU.csdata,"",@progbits
; Kernel info:
; codeLenInByte = 140
; NumSgprs: 6
; NumVgprs: 0
; NumAgprs: 0
; TotalNumVgprs: 0
; ScratchSize: 0
; MemoryBound: 0
; FloatMode: 240
; IeeeMode: 1
; LDSByteSize: 0 bytes/workgroup (compile time only)
; SGPRBlocks: 0
; VGPRBlocks: 0
; NumSGPRsForWavesPerEU: 6
; NumVGPRsForWavesPerEU: 1
; AccumOffset: 4
; Occupancy: 8
; WaveLimiterHint : 0
; COMPUTE_PGM_RSRC2:SCRATCH_EN: 0
; COMPUTE_PGM_RSRC2:USER_SGPR: 0
; COMPUTE_PGM_RSRC2:TRAP_HANDLER: 0
; COMPUTE_PGM_RSRC2:TGID_X_EN: 1
; COMPUTE_PGM_RSRC2:TGID_Y_EN: 0
; COMPUTE_PGM_RSRC2:TGID_Z_EN: 0
; COMPUTE_PGM_RSRC2:TIDIG_COMP_CNT: 0
; COMPUTE_PGM_RSRC3_GFX90A:ACCUM_OFFSET: 0
; COMPUTE_PGM_RSRC3_GFX90A:TG_SPLIT: 0
	.section	.text._ZN2ck27kernel_gemm_xdl_cshuffle_v3INS_28GridwiseGemm_xdl_cshuffle_v3INS_13tensor_layout4gemm8RowMajorENS3_11ColumnMajorES4_dddddNS_16tensor_operation12element_wise11PassThroughES8_S8_LNS6_6device18GemmSpecializationE0ELi128ELi64ELi64ELi64ELi4ELi4ELi16ELi16ELi2ELi4ENS_8SequenceIJLi4ELi32ELi1EEEENSB_IJLi1ELi0ELi2EEEESD_Li2ELi2ELi2ELb0ELi0ESC_SD_SD_Li2ELi2ELi2ELb0ELi0ELi1ELi2ENSB_IJLi1ELi32ELi1ELi4EEEELi2ELNS_26BlockGemmPipelineSchedulerE0ELNS_24BlockGemmPipelineVersionE2EddLb0ELb0ELb0ELi0ELb0EEELb1ELNS_25InMemoryDataOperationEnumE1ELi2ELNS_10TailNumberE10EEEvNT_8ArgumentE,"axG",@progbits,_ZN2ck27kernel_gemm_xdl_cshuffle_v3INS_28GridwiseGemm_xdl_cshuffle_v3INS_13tensor_layout4gemm8RowMajorENS3_11ColumnMajorES4_dddddNS_16tensor_operation12element_wise11PassThroughES8_S8_LNS6_6device18GemmSpecializationE0ELi128ELi64ELi64ELi64ELi4ELi4ELi16ELi16ELi2ELi4ENS_8SequenceIJLi4ELi32ELi1EEEENSB_IJLi1ELi0ELi2EEEESD_Li2ELi2ELi2ELb0ELi0ESC_SD_SD_Li2ELi2ELi2ELb0ELi0ELi1ELi2ENSB_IJLi1ELi32ELi1ELi4EEEELi2ELNS_26BlockGemmPipelineSchedulerE0ELNS_24BlockGemmPipelineVersionE2EddLb0ELb0ELb0ELi0ELb0EEELb1ELNS_25InMemoryDataOperationEnumE1ELi2ELNS_10TailNumberE10EEEvNT_8ArgumentE,comdat
	.protected	_ZN2ck27kernel_gemm_xdl_cshuffle_v3INS_28GridwiseGemm_xdl_cshuffle_v3INS_13tensor_layout4gemm8RowMajorENS3_11ColumnMajorES4_dddddNS_16tensor_operation12element_wise11PassThroughES8_S8_LNS6_6device18GemmSpecializationE0ELi128ELi64ELi64ELi64ELi4ELi4ELi16ELi16ELi2ELi4ENS_8SequenceIJLi4ELi32ELi1EEEENSB_IJLi1ELi0ELi2EEEESD_Li2ELi2ELi2ELb0ELi0ESC_SD_SD_Li2ELi2ELi2ELb0ELi0ELi1ELi2ENSB_IJLi1ELi32ELi1ELi4EEEELi2ELNS_26BlockGemmPipelineSchedulerE0ELNS_24BlockGemmPipelineVersionE2EddLb0ELb0ELb0ELi0ELb0EEELb1ELNS_25InMemoryDataOperationEnumE1ELi2ELNS_10TailNumberE10EEEvNT_8ArgumentE ; -- Begin function _ZN2ck27kernel_gemm_xdl_cshuffle_v3INS_28GridwiseGemm_xdl_cshuffle_v3INS_13tensor_layout4gemm8RowMajorENS3_11ColumnMajorES4_dddddNS_16tensor_operation12element_wise11PassThroughES8_S8_LNS6_6device18GemmSpecializationE0ELi128ELi64ELi64ELi64ELi4ELi4ELi16ELi16ELi2ELi4ENS_8SequenceIJLi4ELi32ELi1EEEENSB_IJLi1ELi0ELi2EEEESD_Li2ELi2ELi2ELb0ELi0ESC_SD_SD_Li2ELi2ELi2ELb0ELi0ELi1ELi2ENSB_IJLi1ELi32ELi1ELi4EEEELi2ELNS_26BlockGemmPipelineSchedulerE0ELNS_24BlockGemmPipelineVersionE2EddLb0ELb0ELb0ELi0ELb0EEELb1ELNS_25InMemoryDataOperationEnumE1ELi2ELNS_10TailNumberE10EEEvNT_8ArgumentE
	.globl	_ZN2ck27kernel_gemm_xdl_cshuffle_v3INS_28GridwiseGemm_xdl_cshuffle_v3INS_13tensor_layout4gemm8RowMajorENS3_11ColumnMajorES4_dddddNS_16tensor_operation12element_wise11PassThroughES8_S8_LNS6_6device18GemmSpecializationE0ELi128ELi64ELi64ELi64ELi4ELi4ELi16ELi16ELi2ELi4ENS_8SequenceIJLi4ELi32ELi1EEEENSB_IJLi1ELi0ELi2EEEESD_Li2ELi2ELi2ELb0ELi0ESC_SD_SD_Li2ELi2ELi2ELb0ELi0ELi1ELi2ENSB_IJLi1ELi32ELi1ELi4EEEELi2ELNS_26BlockGemmPipelineSchedulerE0ELNS_24BlockGemmPipelineVersionE2EddLb0ELb0ELb0ELi0ELb0EEELb1ELNS_25InMemoryDataOperationEnumE1ELi2ELNS_10TailNumberE10EEEvNT_8ArgumentE
	.p2align	8
	.type	_ZN2ck27kernel_gemm_xdl_cshuffle_v3INS_28GridwiseGemm_xdl_cshuffle_v3INS_13tensor_layout4gemm8RowMajorENS3_11ColumnMajorES4_dddddNS_16tensor_operation12element_wise11PassThroughES8_S8_LNS6_6device18GemmSpecializationE0ELi128ELi64ELi64ELi64ELi4ELi4ELi16ELi16ELi2ELi4ENS_8SequenceIJLi4ELi32ELi1EEEENSB_IJLi1ELi0ELi2EEEESD_Li2ELi2ELi2ELb0ELi0ESC_SD_SD_Li2ELi2ELi2ELb0ELi0ELi1ELi2ENSB_IJLi1ELi32ELi1ELi4EEEELi2ELNS_26BlockGemmPipelineSchedulerE0ELNS_24BlockGemmPipelineVersionE2EddLb0ELb0ELb0ELi0ELb0EEELb1ELNS_25InMemoryDataOperationEnumE1ELi2ELNS_10TailNumberE10EEEvNT_8ArgumentE,@function
_ZN2ck27kernel_gemm_xdl_cshuffle_v3INS_28GridwiseGemm_xdl_cshuffle_v3INS_13tensor_layout4gemm8RowMajorENS3_11ColumnMajorES4_dddddNS_16tensor_operation12element_wise11PassThroughES8_S8_LNS6_6device18GemmSpecializationE0ELi128ELi64ELi64ELi64ELi4ELi4ELi16ELi16ELi2ELi4ENS_8SequenceIJLi4ELi32ELi1EEEENSB_IJLi1ELi0ELi2EEEESD_Li2ELi2ELi2ELb0ELi0ESC_SD_SD_Li2ELi2ELi2ELb0ELi0ELi1ELi2ENSB_IJLi1ELi32ELi1ELi4EEEELi2ELNS_26BlockGemmPipelineSchedulerE0ELNS_24BlockGemmPipelineVersionE2EddLb0ELb0ELb0ELi0ELb0EEELb1ELNS_25InMemoryDataOperationEnumE1ELi2ELNS_10TailNumberE10EEEvNT_8ArgumentE: ; @_ZN2ck27kernel_gemm_xdl_cshuffle_v3INS_28GridwiseGemm_xdl_cshuffle_v3INS_13tensor_layout4gemm8RowMajorENS3_11ColumnMajorES4_dddddNS_16tensor_operation12element_wise11PassThroughES8_S8_LNS6_6device18GemmSpecializationE0ELi128ELi64ELi64ELi64ELi4ELi4ELi16ELi16ELi2ELi4ENS_8SequenceIJLi4ELi32ELi1EEEENSB_IJLi1ELi0ELi2EEEESD_Li2ELi2ELi2ELb0ELi0ESC_SD_SD_Li2ELi2ELi2ELb0ELi0ELi1ELi2ENSB_IJLi1ELi32ELi1ELi4EEEELi2ELNS_26BlockGemmPipelineSchedulerE0ELNS_24BlockGemmPipelineVersionE2EddLb0ELb0ELb0ELi0ELb0EEELb1ELNS_25InMemoryDataOperationEnumE1ELi2ELNS_10TailNumberE10EEEvNT_8ArgumentE
; %bb.0:
	s_load_dwordx8 s[16:23], s[0:1], 0x10
	s_load_dword s12, s[0:1], 0x68
	s_load_dwordx2 s[8:9], s[0:1], 0x60
	s_load_dwordx4 s[4:7], s[0:1], 0x50
	v_mov_b32_e32 v198, v0
	s_waitcnt lgkmcnt(0)
	s_cmp_gt_i32 s22, 1
	s_cselect_b64 s[10:11], -1, 0
	s_bitcmp1_b32 s12, 0
	s_cselect_b64 s[14:15], -1, 0
	s_and_b64 s[10:11], s[10:11], s[14:15]
	s_mov_b32 s12, 0
	s_andn2_b64 vcc, exec, s[10:11]
	s_mov_b32 s10, 0
	s_cbranch_vccnz .LBB1_2
; %bb.1:
	s_mul_i32 s10, s16, s3
	s_mul_i32 s10, s10, s17
.LBB1_2:
	s_load_dword s13, s[0:1], 0x34
	s_load_dword s11, s[0:1], 0x3c
	s_add_i32 s0, s16, -1
	s_cmp_lt_u32 s0, 64
	s_cbranch_scc1 .LBB1_10
; %bb.3:
	s_add_i32 s0, s17, -1
	s_cmp_lt_u32 s0, 64
	s_mov_b32 s0, 0
	s_cbranch_scc1 .LBB1_9
; %bb.4:
	s_add_i32 s0, s16, 63
	s_ashr_i32 s1, s0, 31
	s_lshr_b32 s1, s1, 26
	s_add_i32 s0, s0, s1
	s_ashr_i32 s14, s0, 6
	s_add_i32 s0, s17, 63
	s_ashr_i32 s1, s0, 31
	s_lshr_b32 s1, s1, 26
	s_add_i32 s0, s0, s1
	s_ashr_i32 s12, s0, 6
	s_mul_i32 s0, s12, s14
	s_add_i32 s1, s0, 7
	s_ashr_i32 s15, s1, 31
	s_lshr_b32 s15, s15, 29
	s_add_i32 s1, s1, s15
	s_ashr_i32 s15, s1, 3
	s_and_b32 s1, s1, -8
	s_sub_i32 s23, s0, s1
	s_ashr_i32 s0, s2, 31
	s_lshr_b32 s0, s0, 29
	s_add_i32 s25, s2, s0
	s_and_b32 s0, s25, -8
	s_add_i32 s23, s23, 8
	s_sub_i32 s24, s2, s0
	s_cmp_gt_i32 s24, s23
	s_cbranch_scc1 .LBB1_6
; %bb.5:
	s_mul_i32 s2, s15, s24
	s_ashr_i32 s0, s25, 3
	s_cbranch_execz .LBB1_7
	s_branch .LBB1_8
.LBB1_6:
                                        ; implicit-def: $sgpr2
	s_ashr_i32 s0, s25, 3
.LBB1_7:
	s_add_i32 s1, s15, -1
	s_mul_i32 s1, s1, s24
	s_add_i32 s2, s23, s1
.LBB1_8:
	s_abs_i32 s1, s12
	v_cvt_f32_u32_e32 v0, s1
	s_sub_i32 s23, 0, s1
	s_add_i32 s0, s2, s0
	s_abs_i32 s15, s0
	v_rcp_iflag_f32_e32 v0, v0
	s_xor_b32 s2, s0, s12
	s_ashr_i32 s2, s2, 31
	v_mul_f32_e32 v0, 0x4f7ffffe, v0
	v_cvt_u32_f32_e32 v0, v0
	s_nop 0
	v_readfirstlane_b32 s24, v0
	s_mul_i32 s23, s23, s24
	s_mul_hi_u32 s23, s24, s23
	s_add_i32 s24, s24, s23
	s_mul_hi_u32 s23, s15, s24
	s_mul_i32 s24, s23, s1
	s_sub_i32 s15, s15, s24
	s_add_i32 s25, s23, 1
	s_sub_i32 s24, s15, s1
	s_cmp_ge_u32 s15, s1
	s_cselect_b32 s23, s25, s23
	s_cselect_b32 s15, s24, s15
	s_add_i32 s24, s23, 1
	s_cmp_ge_u32 s15, s1
	s_cselect_b32 s1, s24, s23
	s_xor_b32 s1, s1, s2
	s_lshr_b32 s15, s14, 30
	s_sub_i32 s1, s1, s2
	s_add_i32 s15, s14, s15
	s_mul_i32 s2, s1, s12
	s_sub_i32 s0, s0, s2
	s_and_b32 s2, s15, -4
	s_sub_i32 s14, s14, s2
	s_cmp_ge_i32 s1, s2
	s_cselect_b32 s2, s14, 4
	s_abs_i32 s15, s2
	v_cvt_f32_u32_e32 v0, s15
	s_ashr_i32 s14, s1, 31
	s_lshr_b32 s14, s14, 30
	s_add_i32 s14, s1, s14
	v_rcp_iflag_f32_e32 v0, v0
	s_and_b32 s14, s14, -4
	s_sub_i32 s14, s1, s14
	s_sub_i32 s24, 0, s15
	v_mul_f32_e32 v0, 0x4f7ffffe, v0
	v_cvt_u32_f32_e32 v0, v0
	s_mul_i32 s12, s14, s12
	s_add_i32 s12, s12, s0
	s_abs_i32 s23, s12
	v_readfirstlane_b32 s25, v0
	s_mul_i32 s24, s24, s25
	s_mul_hi_u32 s24, s25, s24
	s_add_i32 s25, s25, s24
	s_mul_hi_u32 s24, s23, s25
	s_mul_i32 s25, s24, s15
	s_xor_b32 s0, s12, s2
	s_sub_i32 s23, s23, s25
	s_ashr_i32 s0, s0, 31
	s_add_i32 s25, s24, 1
	s_sub_i32 s26, s23, s15
	s_cmp_ge_u32 s23, s15
	s_cselect_b32 s24, s25, s24
	s_cselect_b32 s23, s26, s23
	s_add_i32 s25, s24, 1
	s_cmp_ge_u32 s23, s15
	s_cselect_b32 s15, s25, s24
	s_xor_b32 s15, s15, s0
	s_sub_i32 s0, s15, s0
	s_mul_i32 s2, s0, s2
	s_sub_i32 s2, s12, s2
	s_add_i32 s2, s2, s1
	s_sub_i32 s2, s2, s14
.LBB1_9:
	s_mov_b32 s12, s2
	s_mov_b32 s2, s0
.LBB1_10:
	s_waitcnt lgkmcnt(0)
	s_mul_i32 s0, s13, s3
	s_ashr_i32 s1, s0, 31
	s_lshl_b64 s[14:15], s[0:1], 3
	s_add_u32 s0, s4, s14
	s_addc_u32 s1, s5, s15
	s_add_u32 s4, s6, s14
	s_addc_u32 s5, s7, s15
	;; [unrolled: 2-line block ×4, first 2 shown]
	s_add_i32 s14, s22, -1
	s_mul_i32 s15, s14, s13
	v_lshlrev_b32_e32 v0, 2, v198
	s_sub_i32 s15, s18, s15
	v_and_b32_e32 v153, 12, v0
	v_lshrrev_b32_e32 v0, 1, v198
	s_cmp_lt_u32 s3, s14
	v_and_b32_e32 v1, 62, v0
	v_and_b32_e32 v138, 14, v0
	s_cselect_b32 s14, s13, s15
	s_lshl_b32 s3, s12, 6
	s_lshl_b32 s13, s2, 6
	v_xor_b32_e32 v203, v138, v153
	v_lshlrev_b32_e32 v3, 6, v1
	v_add_u32_e32 v2, s3, v1
	v_lshl_or_b32 v139, v203, 2, v3
	v_add_u32_e32 v3, s13, v1
	v_lshlrev_b32_e32 v4, 2, v153
	v_mul_lo_u32 v2, v2, s19
	v_mul_lo_u32 v3, v3, s20
	v_add_u32_e32 v70, v2, v4
	v_add_u32_e32 v140, v3, v4
	v_and_b32_e32 v4, 63, v198
	v_and_b32_e32 v5, 48, v198
	v_sub_u32_e32 v9, v4, v5
	v_lshrrev_b32_e32 v4, 2, v198
	scratch_store_dword off, v4, off offset:792 ; 4-byte Folded Spill
	v_and_b32_e32 v4, 16, v4
	v_add_u32_e32 v141, v9, v4
	v_lshrrev_b16_e32 v4, 12, v141
	v_add_u16_e32 v4, v141, v4
	v_and_b32_e32 v4, -16, v4
	v_sub_u16_e32 v8, v141, v4
	v_lshrrev_b16_e32 v4, 11, v9
	v_and_b32_e32 v4, 15, v4
	v_add_u16_e32 v4, v9, v4
	s_ashr_i32 s2, s11, 31
	v_and_b32_e32 v4, 0xf0, v4
	s_lshr_b32 s2, s2, 28
	v_lshrrev_b32_e32 v7, 2, v5
	v_sub_u16_e32 v5, v9, v4
	s_add_i32 s11, s11, s2
	s_mul_i32 s6, s6, s19
	s_mul_i32 s7, s7, s20
	v_xor_b32_sdwa v6, v7, sext(v8) dst_sel:DWORD dst_unused:UNUSED_PAD src0_sel:DWORD src1_sel:WORD_0
	v_xor_b32_sdwa v4, v7, sext(v5) dst_sel:DWORD dst_unused:UNUSED_PAD src0_sel:DWORD src1_sel:BYTE_0
	s_ashr_i32 s15, s11, 4
	; sched_barrier mask(0x00000000)
	v_add_u32_e32 v62, 12, v70
	s_add_i32 s2, s14, s6
	v_add_lshl_u32 v71, v62, s19, 3
	s_lshl_b32 s2, s2, 3
	s_mov_b32 s3, 0x20000
	v_lshlrev_b32_e32 v162, 3, v70
	v_subrev_u32_e32 v18, 64, v71
	v_add_u32_e32 v30, 0xffffffb0, v71
	v_add_lshl_u32 v31, v70, s19, 3
	v_subrev_u32_e32 v50, 48, v71
	v_add_u32_e32 v72, 12, v140
	buffer_load_dwordx4 v[10:13], v162, s[0:3], 0 offen
	buffer_load_dwordx4 v[14:17], v162, s[0:3], 0 offen offset:16
	s_add_i32 s14, s14, s7
	buffer_load_dwordx4 v[18:21], v18, s[0:3], 0 offen
	s_nop 0
	buffer_load_dwordx4 v[22:25], v31, s[0:3], 0 offen
	buffer_load_dwordx4 v[26:29], v30, s[0:3], 0 offen
	s_nop 0
	buffer_load_dwordx4 v[30:33], v50, s[0:3], 0 offen
	buffer_load_dwordx4 v[34:37], v162, s[0:3], 0 offen offset:48
	buffer_load_dwordx4 v[38:41], v162, s[0:3], 0 offen offset:32
	;; [unrolled: 1-line block ×4, first 2 shown]
	v_subrev_u32_e32 v50, 32, v71
	v_add_u32_e32 v63, -16, v71
	v_lshlrev_b32_e32 v73, 3, v62
	v_or_b32_e32 v145, 1, v138
	v_or_b32_e32 v74, 1, v153
	v_add_u32_e32 v146, 0x4c, v70
	v_add_lshl_u32 v130, v72, s20, 3
	buffer_load_dwordx4 v[50:53], v50, s[0:3], 0 offen
	v_lshlrev_b32_e32 v163, 3, v140
	v_add_lshl_u32 v102, v140, s20, 3
	buffer_load_dwordx4 v[54:57], v71, s[0:3], 0 offen offset:16
	buffer_load_dwordx4 v[58:61], v63, s[0:3], 0 offen
	s_nop 0
	buffer_load_dwordx4 v[62:65], v73, s[0:3], 0 offen
	buffer_load_dwordx4 v[66:69], v71, s[0:3], 0 offen
	s_lshl_b32 s6, s14, 3
	s_mov_b32 s7, s3
	v_lshlrev_b32_e32 v122, 3, v72
	v_xor_b32_e32 v131, v145, v153
	v_xor_b32_e32 v148, v145, v74
	scratch_store_dword off, v74, off offset:668 ; 4-byte Folded Spill
	v_lshlrev_b32_e32 v150, 3, v146
	v_subrev_u32_e32 v90, 48, v130
	v_add_u32_e32 v91, 0xffffffb0, v130
	v_subrev_u32_e32 v103, 32, v130
	v_subrev_u32_e32 v104, 64, v130
	v_add_u32_e32 v134, -16, v130
	buffer_load_dwordx4 v[70:73], v162, s[0:3], 0 offen offset:112
	v_xor_b32_e32 v149, v74, v138
	buffer_load_dwordx4 v[74:77], v163, s[4:7], 0 offen
	buffer_load_dwordx4 v[78:81], v163, s[4:7], 0 offen offset:16
	buffer_load_dwordx4 v[82:85], v90, s[4:7], 0 offen
	buffer_load_dwordx4 v[86:89], v91, s[4:7], 0 offen
	s_nop 0
	buffer_load_dwordx4 v[90:93], v102, s[4:7], 0 offen
	buffer_load_dwordx4 v[94:97], v103, s[4:7], 0 offen
	;; [unrolled: 1-line block ×3, first 2 shown]
                                        ; kill: killed $vgpr103
                                        ; kill: killed $vgpr102
                                        ; kill: killed $vgpr104
	s_nop 0
	buffer_load_dwordx4 v[102:105], v163, s[4:7], 0 offen offset:32
	buffer_load_dwordx4 v[106:109], v163, s[4:7], 0 offen offset:48
	;; [unrolled: 1-line block ×5, first 2 shown]
	s_nop 0
	buffer_load_dwordx4 v[122:125], v122, s[4:7], 0 offen
	s_nop 0
	buffer_load_dwordx4 v[126:129], v130, s[4:7], 0 offen
	v_sub_u32_e32 v151, v131, v203
	v_sub_u32_e32 v152, v148, v131
	buffer_load_dwordx4 v[130:133], v130, s[4:7], 0 offen offset:16
	s_nop 0
	buffer_load_dwordx4 v[134:137], v134, s[4:7], 0 offen
	v_lshlrev_b32_e32 v144, 3, v139
	buffer_load_dwordx4 v[154:157], v150, s[0:3], 0 offen
	v_or_b32_e32 v147, 16, v144
	v_lshlrev_b32_e32 v150, 5, v151
	v_lshl_add_u32 v139, v151, 2, v139
	v_lshlrev_b32_e32 v151, 5, v152
	v_add_u32_e32 v147, v147, v150
	v_sub_u32_e32 v148, v149, v148
	v_lshl_add_u32 v139, v152, 2, v139
	v_add_u32_e32 v152, v147, v151
	v_lshl_add_u32 v139, v148, 2, v139
                                        ; kill: killed $vgpr162
                                        ; kill: killed $vgpr163
	s_mov_b32 s11, 0x8010
	s_mov_b32 s14, 0x8000
	s_waitcnt vmcnt(0)
	scratch_store_dwordx4 off, v[154:157], off offset:292 ; 16-byte Folded Spill
	ds_write_b128 v144, v[10:13]
	ds_write_b128 v144, v[14:17] offset:16
	ds_write_b128 v147, v[22:25] offset:496
	;; [unrolled: 1-line block ×5, first 2 shown]
	v_or_b32_e32 v16, 2, v153
	v_lshlrev_b32_e32 v10, 5, v148
	v_xor_b32_e32 v13, v16, v138
	v_add_u32_e32 v11, v152, v10
	v_sub_u32_e32 v14, v13, v149
	v_add_u32_e32 v12, -16, v11
	v_lshlrev_b32_e32 v15, 5, v14
	ds_write_b128 v12, v[38:41]
	v_add_u32_e32 v12, v12, v15
	v_or_b32_e32 v19, 3, v153
	ds_write_b128 v11, v[34:37]
	ds_write_b128 v12, v[42:45]
	v_lshl_add_u32 v12, v14, 2, v139
	v_xor_b32_e32 v14, v16, v145
	v_xor_b32_e32 v17, v145, v19
	v_sub_u32_e32 v13, v14, v13
	v_sub_u32_e32 v14, v17, v14
	v_add_u32_e32 v11, v11, v15
	scratch_store_dword off, v16, off offset:672 ; 4-byte Folded Spill
	v_lshlrev_b32_e32 v16, 2, v13
	v_lshlrev_b32_e32 v18, 2, v14
	;; [unrolled: 1-line block ×3, first 2 shown]
	ds_write_b128 v11, v[46:49]
	v_add3_u32 v12, v16, v12, v18
	v_add_u32_e32 v11, v11, v13
	v_lshlrev_b32_e32 v14, 5, v14
	v_xor_b32_e32 v16, v19, v138
	scratch_store_dword off, v153, off offset:272 ; 4-byte Folded Spill
	ds_write_b128 v11, v[58:61] offset:512
	ds_write_b128 v11, v[50:53] offset:496
	v_add_u32_e32 v11, v11, v14
	v_sub_u32_e32 v17, v16, v17
	v_sub_u32_e32 v16, v203, v16
	ds_write_b128 v11, v[66:69] offset:496
	ds_write_b128 v11, v[54:57] offset:512
	scratch_store_dword off, v19, off offset:676 ; 4-byte Folded Spill
	v_lshlrev_b32_e32 v18, 2, v17
	v_lshlrev_b32_e32 v16, 2, v16
	v_add3_u32 v199, v12, v18, v16
	v_lshlrev_b32_e32 v12, 5, v17
	buffer_load_dwordx4 v[16:19], v162, s[0:3], 0 offen offset:512
	v_add_u32_e32 v11, v11, v12
	ds_write_b128 v11, v[70:73]
	v_add_u32_e32 v11, -16, v11
	s_waitcnt vmcnt(0)
	scratch_store_dwordx4 off, v[16:19], off offset:580 ; 16-byte Folded Spill
	s_nop 1
	v_add_u32_e32 v16, 0x4c, v140
	ds_write_b128 v11, v[62:65]
	ds_write_b128 v144, v[74:77] offset:32768
	v_lshlrev_b32_e32 v17, 3, v16
	buffer_load_dwordx4 v[18:21], v17, s[4:7], 0 offen
	v_or_b32_e32 v11, 0x8010, v144
	v_add_u32_e32 v11, v11, v150
	ds_write_b128 v144, v[78:81] offset:32784
	ds_write_b128 v11, v[86:89] offset:512
	;; [unrolled: 1-line block ×3, first 2 shown]
	v_add_u32_e32 v11, v11, v151
	v_add_u32_e32 v10, v11, v10
	s_waitcnt vmcnt(0)
	scratch_store_dwordx4 off, v[18:21], off offset:548 ; 16-byte Folded Spill
	ds_write_b128 v11, v[98:101] offset:496
	ds_write_b128 v11, v[82:85] offset:512
	v_add_u32_e32 v11, -16, v10
	ds_write_b128 v10, v[106:109]
	ds_write_b128 v11, v[102:105]
	v_add_u32_e32 v11, v11, v15
	v_add_u32_e32 v10, v10, v15
	ds_write_b128 v11, v[158:161]
	ds_write_b128 v10, v[114:117]
	v_add_u32_e32 v10, v10, v13
	ds_write_b128 v10, v[134:137] offset:512
	ds_write_b128 v10, v[94:97] offset:496
	v_add_u32_e32 v10, v10, v14
	ds_write_b128 v10, v[126:129] offset:496
	ds_write_b128 v10, v[130:133] offset:512
	v_add_u32_e32 v10, v10, v12
	buffer_load_dwordx4 v[12:15], v163, s[4:7], 0 offen offset:512
	ds_write_b128 v10, v[110:113]
	v_add_u32_e32 v10, -16, v10
	ds_write_b128 v10, v[122:125]
	s_waitcnt vmcnt(0)
	scratch_store_dwordx4 off, v[12:15], off offset:276 ; 16-byte Folded Spill
	buffer_load_dwordx4 v[142:145], v162, s[0:3], 0 offen offset:528
	s_nop 0
	buffer_load_dwordx4 v[10:13], v162, s[0:3], 0 offen offset:544
	s_waitcnt vmcnt(0)
	scratch_store_dwordx4 off, v[10:13], off offset:388 ; 16-byte Folded Spill
	buffer_load_dwordx4 v[10:13], v162, s[0:3], 0 offen offset:560
	s_waitcnt vmcnt(0)
	scratch_store_dwordx4 off, v[10:13], off offset:404 ; 16-byte Folded Spill
	;; [unrolled: 3-line block ×5, first 2 shown]
	s_nop 1
	v_add_lshl_u32 v10, v146, s19, 3
	buffer_load_dwordx4 v[12:15], v10, s[0:3], 0 offen
	v_add_u32_e32 v11, -16, v10
                                        ; kill: killed $vgpr11
	s_waitcnt vmcnt(0)
	scratch_store_dwordx4 off, v[12:15], off offset:452 ; 16-byte Folded Spill
	buffer_load_dwordx4 v[12:15], v10, s[0:3], 0 offen offset:16
	s_waitcnt vmcnt(0)
	scratch_store_dwordx4 off, v[12:15], off offset:468 ; 16-byte Folded Spill
	buffer_load_dwordx4 v[18:21], v11, s[0:3], 0 offen
	s_nop 0
	v_subrev_u32_e32 v12, 32, v10
	v_subrev_u32_e32 v11, 64, v10
                                        ; kill: killed $vgpr12
                                        ; kill: killed $vgpr11
	s_waitcnt vmcnt(0)
	scratch_store_dwordx4 off, v[18:21], off offset:500 ; 16-byte Folded Spill
	buffer_load_dwordx4 v[18:21], v12, s[0:3], 0 offen
	v_subrev_u32_e32 v12, 48, v10
                                        ; kill: killed $vgpr12
	s_waitcnt vmcnt(0)
	scratch_store_dwordx4 off, v[18:21], off offset:484 ; 16-byte Folded Spill
	buffer_load_dwordx4 v[18:21], v11, s[0:3], 0 offen
	v_add_u32_e32 v11, 0xffffffb0, v10
	v_add_u32_e32 v10, 0xffffffa0, v10
                                        ; kill: killed $vgpr10
                                        ; kill: killed $vgpr11
	s_waitcnt vmcnt(0)
	scratch_store_dwordx4 off, v[18:21], off offset:532 ; 16-byte Folded Spill
	buffer_load_dwordx4 v[234:237], v12, s[0:3], 0 offen
	buffer_load_dwordx4 v[206:209], v11, s[0:3], 0 offen
	;; [unrolled: 1-line block ×3, first 2 shown]
	s_nop 0
	buffer_load_dwordx4 v[12:15], v163, s[4:7], 0 offen offset:528
	v_add_lshl_u32 v10, v16, s20, 3
	v_add_u32_e32 v11, -16, v10
	s_waitcnt vmcnt(0)
	scratch_store_dwordx4 off, v[12:15], off offset:324 ; 16-byte Folded Spill
	buffer_load_dwordx4 v[12:15], v163, s[4:7], 0 offen offset:544
	s_waitcnt vmcnt(0)
	scratch_store_dwordx4 off, v[12:15], off offset:308 ; 16-byte Folded Spill
	buffer_load_dwordx4 v[12:15], v163, s[4:7], 0 offen offset:560
	;; [unrolled: 3-line block ×5, first 2 shown]
	s_waitcnt vmcnt(0)
	scratch_store_dwordx4 off, v[12:15], off offset:596 ; 16-byte Folded Spill
	buffer_load_dwordx4 v[12:15], v10, s[4:7], 0 offen
	s_waitcnt vmcnt(0)
	scratch_store_dwordx4 off, v[12:15], off offset:564 ; 16-byte Folded Spill
	buffer_load_dwordx4 v[12:15], v10, s[4:7], 0 offen offset:16
	s_waitcnt vmcnt(0)
	scratch_store_dwordx4 off, v[12:15], off offset:612 ; 16-byte Folded Spill
	buffer_load_dwordx4 v[14:17], v11, s[4:7], 0 offen
	s_nop 0
	v_subrev_u32_e32 v12, 32, v10
	v_subrev_u32_e32 v11, 64, v10
	v_lshlrev_b32_e32 v13, 9, v9
	v_lshl_add_u32 v20, v4, 5, v13
	s_waitcnt vmcnt(0)
	scratch_store_dwordx4 off, v[14:17], off offset:628 ; 16-byte Folded Spill
	buffer_load_dwordx4 v[224:227], v12, s[4:7], 0 offen
	v_subrev_u32_e32 v12, 48, v10
	buffer_load_dwordx4 v[92:95], v11, s[4:7], 0 offen
	buffer_load_dwordx4 v[100:103], v12, s[4:7], 0 offen
	v_add_u32_e32 v11, 0xffffffb0, v10
	v_add_u32_e32 v10, 0xffffffa0, v10
	buffer_load_dwordx4 v[96:99], v11, s[4:7], 0 offen
	buffer_load_dwordx4 v[210:213], v10, s[4:7], 0 offen
	v_add_u16_e32 v10, 32, v141
	v_ashrrev_i16_e32 v12, 15, v10
	v_add_u16_e32 v14, 16, v9
	v_mov_b32_e32 v15, 11
	v_lshrrev_b16_e32 v12, 12, v12
	v_lshrrev_b16_sdwa v16, v15, sext(v14) dst_sel:DWORD dst_unused:UNUSED_PAD src0_sel:DWORD src1_sel:BYTE_0
	v_add_u16_e32 v12, v10, v12
	v_and_b32_e32 v16, 15, v16
	v_and_b32_e32 v12, -16, v12
	v_add_u16_e32 v16, v14, v16
	v_sub_u16_e32 v12, v10, v12
	v_and_b32_e32 v16, 0xf0, v16
	v_xor_b32_sdwa v10, v7, sext(v12) dst_sel:DWORD dst_unused:UNUSED_PAD src0_sel:DWORD src1_sel:WORD_0
	v_sub_u16_e32 v14, v14, v16
	v_lshlrev_b32_e32 v11, 9, v141
	v_sub_u32_e32 v10, v10, v6
	v_xor_b32_sdwa v16, v7, sext(v14) dst_sel:DWORD dst_unused:UNUSED_PAD src0_sel:DWORD src1_sel:BYTE_0
	v_lshl_add_u32 v18, v6, 5, v11
	v_lshlrev_b32_e32 v10, 5, v10
	v_sub_u32_e32 v16, v16, v4
	v_add_u32_e32 v19, v18, v10
	v_add_u32_e32 v10, 0x8000, v20
	v_lshlrev_b32_e32 v16, 5, v16
	s_waitcnt lgkmcnt(0)
	s_barrier
	scratch_store_dword off, v16, off offset:688 ; 4-byte Folded Spill
	v_add_u32_e32 v16, v10, v16
	ds_read_b128 v[22:25], v16 offset:8192
	v_add_u16_e32 v9, 32, v9
	v_lshrrev_b16_sdwa v15, v15, sext(v9) dst_sel:DWORD dst_unused:UNUSED_PAD src0_sel:DWORD src1_sel:BYTE_0
	v_and_b32_e32 v15, 15, v15
	v_add_u16_e32 v15, v9, v15
	v_and_b32_e32 v15, 0xf0, v15
	s_waitcnt lgkmcnt(0)
	scratch_store_dwordx4 off, v[22:25], off offset:16 ; 16-byte Folded Spill
	ds_read_b128 v[22:25], v16 offset:8208
	v_sub_u16_e32 v9, v9, v15
	v_xor_b32_sdwa v15, v7, sext(v9) dst_sel:DWORD dst_unused:UNUSED_PAD src0_sel:DWORD src1_sel:BYTE_0
	v_sub_u32_e32 v15, v15, v4
	v_lshlrev_b32_e32 v15, 5, v15
	scratch_store_dword off, v15, off offset:696 ; 4-byte Folded Spill
	v_add_u32_e32 v15, v10, v15
	s_waitcnt lgkmcnt(0)
	scratch_store_dwordx4 off, v[22:25], off ; 16-byte Folded Spill
	ds_read_b128 v[22:25], v15 offset:16384
	v_and_b32_e32 v17, 15, v198
	s_waitcnt lgkmcnt(0)
	scratch_store_dwordx4 off, v[22:25], off offset:96 ; 16-byte Folded Spill
	ds_read_b128 v[22:25], v15 offset:16400
	v_xor_b32_e32 v15, v7, v17
	v_sub_u32_e32 v15, v15, v4
	v_lshlrev_b32_e32 v15, 5, v15
	scratch_store_dword off, v15, off offset:700 ; 4-byte Folded Spill
	s_waitcnt lgkmcnt(0)
	scratch_store_dwordx4 off, v[22:25], off offset:32 ; 16-byte Folded Spill
	v_add_u32_e32 v15, v10, v15
	ds_read_b128 v[122:125], v15 offset:24576
	ds_read_b128 v[108:111], v15 offset:24592
	v_or_b32_e32 v15, 1, v7
	v_xor_b32_sdwa v16, v15, sext(v8) dst_sel:DWORD dst_unused:UNUSED_PAD src0_sel:DWORD src1_sel:WORD_0
	v_lshl_add_u32 v22, v16, 5, v11
	v_xor_b32_sdwa v16, v15, sext(v12) dst_sel:DWORD dst_unused:UNUSED_PAD src0_sel:DWORD src1_sel:WORD_0
	v_sub_u32_e32 v16, v16, v6
	v_lshlrev_b32_e32 v16, 5, v16
	v_add_u32_e32 v23, v18, v16
	v_xor_b32_sdwa v16, v15, sext(v5) dst_sel:DWORD dst_unused:UNUSED_PAD src0_sel:DWORD src1_sel:BYTE_0
	v_lshl_add_u32 v21, v16, 5, v13
	v_xor_b32_sdwa v16, v15, sext(v14) dst_sel:DWORD dst_unused:UNUSED_PAD src0_sel:DWORD src1_sel:BYTE_0
	v_sub_u32_e32 v16, v16, v4
	v_lshlrev_b32_e32 v16, 5, v16
	scratch_store_dword off, v16, off offset:716 ; 4-byte Folded Spill
	v_add_u32_e32 v16, v10, v16
	ds_read_b128 v[24:27], v16 offset:8192
	s_waitcnt lgkmcnt(0)
	scratch_store_dwordx4 off, v[24:27], off offset:192 ; 16-byte Folded Spill
	ds_read_b128 v[24:27], v16 offset:8208
	v_xor_b32_sdwa v16, v15, sext(v9) dst_sel:DWORD dst_unused:UNUSED_PAD src0_sel:DWORD src1_sel:BYTE_0
	v_sub_u32_e32 v16, v16, v4
	v_lshlrev_b32_e32 v16, 5, v16
	scratch_store_dword off, v16, off offset:720 ; 4-byte Folded Spill
	v_add_u32_e32 v16, v10, v16
	s_waitcnt lgkmcnt(0)
	scratch_store_dwordx4 off, v[24:27], off offset:176 ; 16-byte Folded Spill
	ds_read_b128 v[24:27], v16 offset:16384
	v_xor_b32_e32 v15, v15, v17
	v_sub_u32_e32 v15, v15, v4
	v_lshlrev_b32_e32 v15, 5, v15
	scratch_store_dword off, v15, off offset:724 ; 4-byte Folded Spill
	s_waitcnt lgkmcnt(0)
	scratch_store_dwordx4 off, v[24:27], off offset:160 ; 16-byte Folded Spill
	ds_read_b128 v[24:27], v16 offset:16400
	v_add_u32_e32 v15, v10, v15
	s_waitcnt lgkmcnt(0)
	scratch_store_dwordx4 off, v[24:27], off offset:128 ; 16-byte Folded Spill
	ds_read_b128 v[24:27], v15 offset:24576
	s_waitcnt lgkmcnt(0)
	scratch_store_dwordx4 off, v[24:27], off offset:144 ; 16-byte Folded Spill
	ds_read_b128 v[24:27], v15 offset:24592
	v_or_b32_e32 v15, 2, v7
	v_xor_b32_sdwa v16, v15, sext(v8) dst_sel:DWORD dst_unused:UNUSED_PAD src0_sel:DWORD src1_sel:WORD_0
	v_or_b32_e32 v7, 3, v7
	v_xor_b32_sdwa v8, v7, sext(v8) dst_sel:DWORD dst_unused:UNUSED_PAD src0_sel:DWORD src1_sel:WORD_0
	s_waitcnt lgkmcnt(0)
	scratch_store_dwordx4 off, v[24:27], off offset:112 ; 16-byte Folded Spill
	s_nop 1
	v_lshl_add_u32 v24, v16, 5, v11
	v_xor_b32_sdwa v16, v15, sext(v12) dst_sel:DWORD dst_unused:UNUSED_PAD src0_sel:DWORD src1_sel:WORD_0
	v_sub_u32_e32 v16, v16, v6
	v_lshlrev_b32_e32 v16, 5, v16
	v_add_u32_e32 v25, v18, v16
	v_xor_b32_sdwa v16, v15, sext(v5) dst_sel:DWORD dst_unused:UNUSED_PAD src0_sel:DWORD src1_sel:BYTE_0
	v_lshl_add_u32 v26, v16, 5, v13
	v_xor_b32_sdwa v16, v15, sext(v14) dst_sel:DWORD dst_unused:UNUSED_PAD src0_sel:DWORD src1_sel:BYTE_0
	v_sub_u32_e32 v16, v16, v4
	v_lshlrev_b32_e32 v16, 5, v16
	scratch_store_dword off, v16, off offset:736 ; 4-byte Folded Spill
	v_add_u32_e32 v16, v10, v16
	ds_read_b128 v[28:31], v16 offset:8192
	v_lshl_add_u32 v11, v8, 5, v11
	v_xor_b32_sdwa v8, v7, sext(v12) dst_sel:DWORD dst_unused:UNUSED_PAD src0_sel:DWORD src1_sel:WORD_0
	v_xor_b32_sdwa v5, v7, sext(v5) dst_sel:DWORD dst_unused:UNUSED_PAD src0_sel:DWORD src1_sel:BYTE_0
	v_sub_u32_e32 v6, v8, v6
	s_waitcnt lgkmcnt(0)
	scratch_store_dwordx4 off, v[28:31], off offset:80 ; 16-byte Folded Spill
	ds_read_b128 v[28:31], v16 offset:8208
	v_xor_b32_sdwa v16, v15, sext(v9) dst_sel:DWORD dst_unused:UNUSED_PAD src0_sel:DWORD src1_sel:BYTE_0
	v_sub_u32_e32 v16, v16, v4
	v_lshlrev_b32_e32 v16, 5, v16
	scratch_store_dword off, v16, off offset:740 ; 4-byte Folded Spill
	v_add_u32_e32 v16, v10, v16
	s_waitcnt lgkmcnt(0)
	scratch_store_dwordx4 off, v[28:31], off offset:48 ; 16-byte Folded Spill
	ds_read_b128 v[28:31], v16 offset:16384
	ds_read_b128 v[158:161], v16 offset:16400
	v_xor_b32_e32 v15, v15, v17
	v_sub_u32_e32 v15, v15, v4
	v_lshl_add_u32 v8, v5, 5, v13
	v_xor_b32_sdwa v5, v7, sext(v14) dst_sel:DWORD dst_unused:UNUSED_PAD src0_sel:DWORD src1_sel:BYTE_0
	v_lshlrev_b32_e32 v15, 5, v15
	v_sub_u32_e32 v5, v5, v4
	s_waitcnt lgkmcnt(1)
	scratch_store_dwordx4 off, v[28:31], off offset:64 ; 16-byte Folded Spill
	scratch_store_dword off, v15, off offset:744 ; 4-byte Folded Spill
	v_add_u32_e32 v15, v10, v15
	v_lshlrev_b32_e32 v5, 5, v5
	ds_read_b128 v[162:165], v15 offset:24576
	ds_read_b128 v[146:149], v15 offset:24592
	scratch_store_dword off, v5, off offset:760 ; 4-byte Folded Spill
	v_add_u32_e32 v5, v10, v5
	ds_read_b128 v[138:141], v5 offset:8192
	ds_read_b128 v[134:137], v5 offset:8208
	v_xor_b32_sdwa v5, v7, sext(v9) dst_sel:DWORD dst_unused:UNUSED_PAD src0_sel:DWORD src1_sel:BYTE_0
	v_sub_u32_e32 v5, v5, v4
	v_lshlrev_b32_e32 v5, 5, v5
	scratch_store_dword off, v5, off offset:764 ; 4-byte Folded Spill
	v_add_u32_e32 v5, v10, v5
	ds_read_b128 v[186:189], v5 offset:16384
	ds_read_b128 v[126:129], v5 offset:16400
	v_xor_b32_e32 v5, v7, v17
	v_sub_u32_e32 v4, v5, v4
	v_lshlrev_b32_e32 v4, 5, v4
	scratch_store_dword off, v17, off offset:796 ; 4-byte Folded Spill
	scratch_store_dword off, v4, off offset:768 ; 4-byte Folded Spill
	v_add_u32_e32 v4, v10, v4
	ds_read_b128 v[182:185], v4 offset:24576
	ds_read_b128 v[130:133], v4 offset:24592
	ds_read_b128 v[74:77], v18
	scratch_store_dword off, v18, off offset:680 ; 4-byte Folded Spill
	ds_read_b128 v[70:73], v18 offset:16
	ds_read_b128 v[250:253], v19 offset:16384
	scratch_store_dword off, v19, off offset:684 ; 4-byte Folded Spill
	ds_read_b128 v[246:249], v19 offset:16400
	ds_read_b128 v[118:121], v20 offset:32768
	scratch_store_dword off, v20, off offset:692 ; 4-byte Folded Spill
	ds_read_b128 v[220:223], v20 offset:32784
	ds_read_b128 v[194:197], v22
	scratch_store_dword off, v22, off offset:708 ; 4-byte Folded Spill
	ds_read_b128 v[190:193], v22 offset:16
	ds_read_b128 v[178:181], v23 offset:16384
	scratch_store_dword off, v23, off offset:712 ; 4-byte Folded Spill
	ds_read_b128 v[174:177], v23 offset:16400
	ds_read_b128 v[12:15], v21 offset:32768
	s_waitcnt lgkmcnt(0)
	scratch_store_dwordx4 off, v[12:15], off offset:256 ; 16-byte Folded Spill
	scratch_store_dword off, v21, off offset:704 ; 4-byte Folded Spill
	ds_read_b128 v[12:15], v21 offset:32784
	ds_read_b128 v[170:173], v24
	scratch_store_dword off, v24, off offset:728 ; 4-byte Folded Spill
	v_lshlrev_b32_e32 v6, 5, v6
	v_add_u32_e32 v6, v18, v6
	s_waitcnt lgkmcnt(1)
	scratch_store_dwordx4 off, v[12:15], off offset:240 ; 16-byte Folded Spill
	ds_read_b128 v[166:169], v24 offset:16
	ds_read_b128 v[154:157], v25 offset:16384
	scratch_store_dword off, v25, off offset:732 ; 4-byte Folded Spill
	ds_read_b128 v[150:153], v25 offset:16400
	ds_read_b128 v[12:15], v26 offset:32768
	s_waitcnt lgkmcnt(0)
	scratch_store_dwordx4 off, v[12:15], off offset:224 ; 16-byte Folded Spill
	scratch_store_dword off, v26, off offset:780 ; 4-byte Folded Spill
	ds_read_b128 v[12:15], v26 offset:32784
	ds_read_b128 v[66:69], v11
	scratch_store_dword off, v11, off offset:748 ; 4-byte Folded Spill
	s_waitcnt lgkmcnt(1)
	scratch_store_dwordx4 off, v[12:15], off offset:208 ; 16-byte Folded Spill
	ds_read_b128 v[238:241], v11 offset:16
	ds_read_b128 v[114:117], v6 offset:16384
	scratch_store_dword off, v6, off offset:752 ; 4-byte Folded Spill
	ds_read_b128 v[228:231], v6 offset:16400
	ds_read_b128 v[104:107], v8 offset:32768
	;; [unrolled: 1-line block ×3, first 2 shown]
	scratch_store_dword off, v8, off offset:756 ; 4-byte Folded Spill
	; sched_barrier mask(0x00000000)
	v_or_b32_e32 v0, 1, v0
	v_sub_u32_e32 v4, v0, v1
	v_lshlrev_b32_e32 v1, 6, v4
	scratch_store_dword off, v1, off offset:772 ; 4-byte Folded Spill
	scratch_store_dword off, v198, off offset:788 ; 4-byte Folded Spill
	v_and_b32_e32 v1, 3, v198
	s_add_i32 s15, s15, -1
	v_lshlrev_b32_e32 v1, 7, v1
	v_add_lshl_u32 v112, v3, s20, 3
	v_lshlrev_b32_e32 v91, 3, v3
	v_add_lshl_u32 v198, v2, s19, 3
	v_lshlrev_b32_e32 v88, 3, v2
	v_mov_b64_e32 v[2:3], 0
	s_max_i32 s15, s15, 1
	scratch_store_dword off, v1, off offset:776 ; 4-byte Folded Spill
	v_add_u32_e32 v1, -1, v4
	v_mov_b32_e32 v200, v199
	v_mov_b64_e32 v[4:5], v[2:3]
	v_mov_b64_e32 v[6:7], v[2:3]
	;; [unrolled: 1-line block ×31, first 2 shown]
	scratch_store_dword off, v1, off offset:784 ; 4-byte Folded Spill
.LBB1_11:                               ; =>This Inner Loop Header: Depth=1
	s_waitcnt lgkmcnt(0)
	s_barrier
	scratch_load_dwordx4 v[84:87], off, off offset:580 ; 16-byte Folded Reload
	v_mfma_f64_16x16x4_f64 v[58:65], v[74:75], v[118:119], v[58:65]
	; sched_group_barrier mask(0x00000020) size(1) SyncID(0)
	v_ashrrev_i32_e32 v201, 31, v0
	v_lshrrev_b32_e32 v201, 28, v201
	v_add_u32_e32 v201, v0, v201
	v_and_b32_e32 v201, -16, v201
	v_sub_u32_e32 v202, v0, v201
	v_mov_b32_e32 v113, v112
	v_mov_b32_e32 v112, v199
	v_lshlrev_b32_e32 v199, 3, v200
	ds_write_b128 v199, v[142:145] offset:16
	v_not_b32_e32 v90, 63
	s_waitcnt vmcnt(51)
	v_mov_b64_e32 v[142:143], v[224:225]
	v_mov_b64_e32 v[144:145], v[226:227]
	v_mfma_f64_16x16x4_f64 v[34:41], v[74:75], v[122:123], v[34:41]
	v_mfma_f64_16x16x4_f64 v[58:65], v[76:77], v[120:121], v[58:65]
	scratch_load_dword v1, off, off offset:272 ; 4-byte Folded Reload
	; sched_group_barrier mask(0x00000008) size(3) SyncID(0)
	; sched_group_barrier mask(0x00000020) size(1) SyncID(0)
	v_mfma_f64_16x16x4_f64 v[18:25], v[250:251], v[118:119], v[18:25]
	v_mfma_f64_16x16x4_f64 v[34:41], v[76:77], v[124:125], v[34:41]
	;; [unrolled: 1-line block ×3, first 2 shown]
	scratch_load_dword v78, off, off offset:772 ; 4-byte Folded Reload
	; sched_group_barrier mask(0x00000008) size(3) SyncID(0)
	; sched_group_barrier mask(0x00000020) size(1) SyncID(0)
	v_mfma_f64_16x16x4_f64 v[2:9], v[250:251], v[122:123], v[2:9]
	v_mfma_f64_16x16x4_f64 v[18:25], v[252:253], v[120:121], v[18:25]
	scratch_load_dwordx4 v[118:121], off, off offset:240 ; 16-byte Folded Reload
	v_mfma_f64_16x16x4_f64 v[34:41], v[72:73], v[110:111], v[34:41]
	; sched_group_barrier mask(0x00000008) size(3) SyncID(0)
	s_waitcnt vmcnt(3)
	ds_write_b128 v199, v[84:87]
	s_waitcnt vmcnt(2)
	v_xor_b32_e32 v201, v202, v1
	v_sub_u32_e32 v203, v201, v203
	s_waitcnt vmcnt(1)
	v_lshl_add_u32 v203, v203, 2, v78
	v_lshlrev_b32_e32 v204, 3, v203
	v_add_u32_e32 v199, v199, v204
	ds_write_b128 v199, v[206:209] offset:16
	scratch_load_dword v209, off, off offset:668 ; 4-byte Folded Reload
	v_mfma_f64_16x16x4_f64 v[2:9], v[252:253], v[124:125], v[2:9]
	ds_write_b128 v199, v[80:83]
	v_mov_b64_e32 v[82:83], v[242:243]
	v_mov_b64_e32 v[84:85], v[244:245]
	;; [unrolled: 1-line block ×4, first 2 shown]
	scratch_load_dwordx4 v[122:125], off, off offset:256 ; 16-byte Folded Reload
	; sched_group_barrier mask(0x00000020) size(1) SyncID(0)
	v_mfma_f64_16x16x4_f64 v[2:9], v[246:247], v[108:109], v[2:9]
	v_mfma_f64_16x16x4_f64 v[2:9], v[248:249], v[110:111], v[2:9]
	scratch_load_dwordx4 v[78:81], off, off offset:532 ; 16-byte Folded Reload
	scratch_load_dwordx4 v[108:111], off, off offset:192 ; 16-byte Folded Reload
	; sched_group_barrier mask(0x00000008) size(3) SyncID(0)
	; sched_group_barrier mask(0x00000020) size(1) SyncID(0)
	s_waitcnt vmcnt(3)
	v_xor_b32_e32 v205, v202, v209
	v_sub_u32_e32 v206, v205, v201
	v_lshlrev_b32_e32 v207, 5, v206
	v_add_u32_e32 v199, v199, v207
	v_add_u32_e32 v201, -1, v0
	v_ashrrev_i32_e32 v208, 31, v201
	v_lshrrev_b32_e32 v208, 28, v208
	v_add_u32_e32 v208, v201, v208
	v_and_b32_e32 v208, -16, v208
	v_sub_u32_e32 v255, v201, v208
	v_xor_b32_e32 v208, v255, v209
	v_sub_u32_e32 v205, v208, v205
	v_lshl_add_u32 v205, v205, 2, v90
	v_lshlrev_b32_e32 v209, 3, v205
	v_add_u32_e32 v210, v199, v209
	ds_write_b128 v199, v[234:237] offset:16
	v_lshlrev_b32_e32 v206, 2, v206
	s_waitcnt vmcnt(1)
	ds_write_b128 v199, v[78:81]
	scratch_load_dwordx4 v[78:81], off, off offset:388 ; 16-byte Folded Reload
	v_add_u32_e32 v199, 16, v199
	v_add_u32_e32 v199, v199, v209
	s_waitcnt vmcnt(0)
	ds_write_b128 v210, v[78:81]
	scratch_load_dwordx4 v[78:81], off, off offset:404 ; 16-byte Folded Reload
	scratch_load_dword v213, off, off offset:672 ; 4-byte Folded Reload
	s_waitcnt vmcnt(1)
	ds_write_b128 v199, v[78:81]
	scratch_load_dwordx4 v[78:81], off, off offset:420 ; 16-byte Folded Reload
	s_waitcnt vmcnt(1)
	v_xor_b32_e32 v211, v255, v213
	v_sub_u32_e32 v208, v211, v208
	v_lshlrev_b32_e32 v232, 5, v208
	v_add_u32_e32 v210, v210, v232
	v_xor_b32_e32 v213, v202, v213
	v_sub_u32_e32 v211, v213, v211
	v_add_u32_e32 v199, v199, v232
	v_lshlrev_b32_e32 v214, 5, v211
	v_lshl_add_u32 v233, v211, 2, 64
	v_lshlrev_b32_e32 v215, 3, v233
	v_lshlrev_b32_e32 v208, 2, v208
	s_waitcnt vmcnt(0)
	ds_write_b128 v210, v[78:81]
	scratch_load_dwordx4 v[78:81], off, off offset:436 ; 16-byte Folded Reload
	scratch_load_dwordx4 v[216:219], off, off offset:500 ; 16-byte Folded Reload
	s_waitcnt vmcnt(1)
	ds_write_b128 v199, v[78:81]
	v_add_u32_e32 v199, v199, v214
	s_waitcnt vmcnt(0)
	ds_write_b128 v199, v[216:219] offset:512
	scratch_load_dwordx4 v[216:219], off, off offset:484 ; 16-byte Folded Reload
	v_add_u32_e32 v199, v210, v215
	s_waitcnt vmcnt(0)
	ds_write_b128 v199, v[216:219]
	scratch_load_dword v218, off, off offset:676 ; 4-byte Folded Reload
	scratch_load_dwordx4 v[224:227], off, off offset:452 ; 16-byte Folded Reload
	s_waitcnt vmcnt(1)
	v_xor_b32_e32 v202, v202, v218
	v_sub_u32_e32 v210, v202, v213
	v_lshlrev_b32_e32 v219, 5, v210
	v_add_u32_e32 v216, v199, v219
	v_add3_u32 v199, v200, v203, v206
	v_lshlrev_b32_e32 v254, 2, v210
	v_add3_u32 v199, v199, v205, v208
	v_add3_u32 v1, v199, v233, v254
	scratch_store_dword off, v1, off offset:660 ; 4-byte Folded Spill
	v_lshlrev_b32_e32 v217, 3, v1
	v_mov_b32_e32 v1, v198
	scratch_load_dwordx4 v[198:201], off, off offset:468 ; 16-byte Folded Reload
	scratch_load_dwordx4 v[210:213], off, off offset:372 ; 16-byte Folded Reload
	v_xor_b32_e32 v78, v255, v218
	s_waitcnt vmcnt(3)
	ds_write_b128 v216, v[224:227]
	scratch_store_dword off, v78, off offset:664 ; 4-byte Folded Spill
	s_waitcnt vmcnt(2)
	ds_write_b128 v217, v[198:201] offset:16
	v_sub_u32_e32 v199, v78, v202
	v_lshl_add_u32 v218, v199, 2, v90
	v_lshlrev_b32_e32 v202, 3, v218
	v_add3_u32 v217, v217, 16, v202
	s_waitcnt vmcnt(1)
	ds_write_b128 v217, v[210:213]
	scratch_load_dwordx4 v[210:213], off, off offset:292 ; 16-byte Folded Reload
	v_add_u32_e32 v216, v216, v202
	v_mov_b32_e32 v217, v88
	scratch_load_dwordx4 v[86:89], off, off offset:128 ; 16-byte Folded Reload
	s_waitcnt vmcnt(1)
	ds_write_b128 v216, v[210:213]
	v_mov_b64_e32 v[210:211], v[220:221]
	v_mov_b64_e32 v[212:213], v[222:223]
	s_nop 0
	v_mfma_f64_16x16x4_f64 v[58:65], v[70:71], v[210:211], v[58:65]
	v_mfma_f64_16x16x4_f64 v[58:65], v[72:73], v[212:213], v[58:65]
	scratch_load_dword v90, off, off offset:776 ; 4-byte Folded Reload
	s_waitcnt vmcnt(0)
	v_add_u32_e32 v216, v90, v217
	buffer_load_dwordx4 v[78:81], v216, s[0:3], 0 offen offset:1024
	s_waitcnt vmcnt(0)
	scratch_store_dwordx4 off, v[78:81], off offset:580 ; 16-byte Folded Spill
	buffer_load_dwordx4 v[78:81], v216, s[0:3], 0 offen offset:1040
	s_nop 0
	scratch_load_dwordx4 v[234:237], off, off offset:16 ; 16-byte Folded Reload
	s_waitcnt vmcnt(0)
	v_mfma_f64_16x16x4_f64 v[50:57], v[74:75], v[234:235], v[50:57]
	v_mfma_f64_16x16x4_f64 v[10:17], v[250:251], v[234:235], v[10:17]
	scratch_store_dwordx4 off, v[78:81], off offset:644 ; 16-byte Folded Spill
	v_mfma_f64_16x16x4_f64 v[50:57], v[76:77], v[236:237], v[50:57]
	buffer_load_dwordx4 v[198:201], v216, s[0:3], 0 offen offset:1056
	v_mfma_f64_16x16x4_f64 v[10:17], v[252:253], v[236:237], v[10:17]
	scratch_load_dwordx4 v[220:223], off, off offset:96 ; 16-byte Folded Reload
	s_waitcnt vmcnt(0)
	v_mfma_f64_16x16x4_f64 v[42:49], v[74:75], v[220:221], v[42:49]
	scratch_store_dwordx4 off, v[198:201], off offset:388 ; 16-byte Folded Spill
	v_mfma_f64_16x16x4_f64 v[42:49], v[76:77], v[222:223], v[42:49]
	scratch_load_dwordx4 v[78:81], off, off ; 16-byte Folded Reload
	s_waitcnt vmcnt(0)
	v_mfma_f64_16x16x4_f64 v[50:57], v[70:71], v[78:79], v[50:57]
	v_mfma_f64_16x16x4_f64 v[10:17], v[246:247], v[78:79], v[10:17]
	v_mfma_f64_16x16x4_f64 v[50:57], v[72:73], v[80:81], v[50:57]
	buffer_load_dwordx4 v[198:201], v216, s[0:3], 0 offen offset:1072
	v_mfma_f64_16x16x4_f64 v[10:17], v[248:249], v[80:81], v[10:17]
	scratch_load_dwordx4 v[224:227], off, off offset:32 ; 16-byte Folded Reload
	scratch_load_dwordx4 v[78:81], off, off offset:112 ; 16-byte Folded Reload
	s_waitcnt vmcnt(1)
	v_mfma_f64_16x16x4_f64 v[42:49], v[70:71], v[224:225], v[42:49]
	scratch_store_dwordx4 off, v[198:201], off offset:404 ; 16-byte Folded Spill
	v_mfma_f64_16x16x4_f64 v[42:49], v[72:73], v[226:227], v[42:49]
	buffer_load_dwordx4 v[198:201], v216, s[0:3], 0 offen offset:1088
	s_waitcnt vmcnt(0)
	scratch_store_dwordx4 off, v[198:201], off offset:420 ; 16-byte Folded Spill
	buffer_load_dwordx4 v[74:77], v216, s[0:3], 0 offen offset:1104
	s_nop 0
	v_mov_b32_e32 v198, v1
	s_waitcnt vmcnt(0)
	scratch_store_dwordx4 off, v[74:77], off offset:436 ; 16-byte Folded Spill
	buffer_load_dwordx4 v[70:73], v216, s[0:3], 0 offen offset:1136
	s_waitcnt vmcnt(0)
	scratch_store_dwordx4 off, v[70:73], off offset:372 ; 16-byte Folded Spill
	buffer_load_dwordx4 v[70:73], v216, s[0:3], 0 offen offset:1120
	s_waitcnt vmcnt(0)
	scratch_store_dwordx4 off, v[70:73], off offset:292 ; 16-byte Folded Spill
	s_nop 1
	v_add_u32_e32 v70, v90, v198
	buffer_load_dwordx4 v[72:75], v70, s[0:3], 0 offen offset:1120
	v_lshlrev_b32_e32 v71, 3, v112
	s_waitcnt vmcnt(0)
	scratch_store_dwordx4 off, v[72:75], off offset:452 ; 16-byte Folded Spill
	buffer_load_dwordx4 v[72:75], v70, s[0:3], 0 offen offset:1136
	s_waitcnt vmcnt(0)
	scratch_store_dwordx4 off, v[72:75], off offset:468 ; 16-byte Folded Spill
	buffer_load_dwordx4 v[72:75], v70, s[0:3], 0 offen offset:1104
	s_waitcnt vmcnt(0)
	scratch_store_dwordx4 off, v[72:75], off offset:500 ; 16-byte Folded Spill
	scratch_load_dwordx4 v[72:75], off, off offset:276 ; 16-byte Folded Reload
	s_waitcnt vmcnt(0)
	ds_write_b128 v71, v[72:75] offset:32768
	scratch_load_dwordx4 v[72:75], off, off offset:324 ; 16-byte Folded Reload
	s_waitcnt vmcnt(0)
	ds_write_b128 v71, v[72:75] offset:32784
	scratch_load_dwordx4 v[72:75], off, off offset:340 ; 16-byte Folded Reload
	v_add_u32_e32 v71, v204, v71
	ds_write_b128 v71, v[96:99] offset:32784
	ds_write_b128 v71, v[242:245] offset:32768
	v_add_u32_e32 v71, v71, v207
	ds_write_b128 v71, v[92:95] offset:32768
	ds_write_b128 v71, v[100:103] offset:32784
	v_add3_u32 v71, v71, s11, v209
	scratch_load_dwordx4 v[92:95], off, off offset:144 ; 16-byte Folded Reload
	scratch_load_dwordx4 v[96:99], off, off offset:160 ; 16-byte Folded Reload
	;; [unrolled: 1-line block ×3, first 2 shown]
	s_waitcnt vmcnt(3)
	ds_write_b128 v71, v[72:75]
	scratch_load_dwordx4 v[74:77], off, off offset:308 ; 16-byte Folded Reload
	v_add_u32_e32 v72, v203, v112
	v_add3_u32 v72, v72, v206, v205
	v_lshlrev_b32_e32 v73, 3, v72
	v_add_u32_e32 v71, v71, v232
	v_add_u32_e32 v72, v72, v208
	v_mov_b32_e32 v112, v113
	s_waitcnt vmcnt(3)
	v_mfma_f64_16x16x4_f64 v[34:41], v[194:195], v[92:93], v[34:41]
	v_mfma_f64_16x16x4_f64 v[34:41], v[196:197], v[94:95], v[34:41]
	;; [unrolled: 1-line block ×10, first 2 shown]
	s_waitcnt vmcnt(0)
	ds_write_b128 v73, v[74:77] offset:32768
	scratch_load_dwordx4 v[74:77], off, off offset:356 ; 16-byte Folded Reload
	v_add3_u32 v73, v73, s14, v232
	v_mfma_f64_16x16x4_f64 v[26:33], v[250:251], v[220:221], v[26:33]
	v_mfma_f64_16x16x4_f64 v[34:41], v[238:239], v[130:131], v[34:41]
	;; [unrolled: 1-line block ×8, first 2 shown]
	scratch_load_dwordx4 v[92:95], off, off offset:80 ; 16-byte Folded Reload
	v_mfma_f64_16x16x4_f64 v[2:9], v[174:175], v[78:79], v[2:9]
	v_add3_u32 v79, v72, v233, v254
	v_lshlrev_b32_e32 v72, 3, v79
	v_mfma_f64_16x16x4_f64 v[26:33], v[178:179], v[96:97], v[26:33]
	v_mfma_f64_16x16x4_f64 v[26:33], v[180:181], v[98:99], v[26:33]
	v_mfma_f64_16x16x4_f64 v[26:33], v[174:175], v[86:87], v[26:33]
	v_mfma_f64_16x16x4_f64 v[26:33], v[176:177], v[88:89], v[26:33]
	s_waitcnt vmcnt(1)
	ds_write_b128 v73, v[74:77]
	buffer_load_dwordx4 v[74:77], v70, s[0:3], 0 offen offset:1088
	s_waitcnt vmcnt(0)
	scratch_store_dwordx4 off, v[74:77], off offset:484 ; 16-byte Folded Spill
	buffer_load_dwordx4 v[74:77], v70, s[0:3], 0 offen offset:1056
	s_nop 0
	buffer_load_dwordx4 v[204:207], v70, s[0:3], 0 offen offset:1024
	buffer_load_dwordx4 v[242:245], v70, s[0:3], 0 offen offset:1040
	s_waitcnt vmcnt(2)
	scratch_store_dwordx4 off, v[74:77], off offset:532 ; 16-byte Folded Spill
	buffer_load_dwordx4 v[234:237], v70, s[0:3], 0 offen offset:1072
	v_add_u32_e32 v70, v90, v91
	buffer_load_dwordx4 v[74:77], v70, s[4:7], 0 offen offset:1024
	s_waitcnt vmcnt(0)
	scratch_store_dwordx4 off, v[74:77], off offset:276 ; 16-byte Folded Spill
	buffer_load_dwordx4 v[74:77], v70, s[4:7], 0 offen offset:1040
	s_waitcnt vmcnt(0)
	scratch_store_dwordx4 off, v[74:77], off offset:324 ; 16-byte Folded Spill
	;; [unrolled: 3-line block ×5, first 2 shown]
	scratch_load_dwordx4 v[74:77], off, off offset:516 ; 16-byte Folded Reload
	s_waitcnt vmcnt(0)
	ds_write_b128 v71, v[74:77]
	buffer_load_dwordx4 v[74:77], v70, s[4:7], 0 offen offset:1104
	v_add_u32_e32 v71, v71, v214
	s_waitcnt vmcnt(0)
	scratch_store_dwordx4 off, v[74:77], off offset:516 ; 16-byte Folded Spill
	scratch_load_dwordx4 v[74:77], off, off offset:628 ; 16-byte Folded Reload
	s_waitcnt vmcnt(0)
	ds_write_b128 v71, v[74:77] offset:512
	scratch_load_dwordx4 v[74:77], off, off offset:564 ; 16-byte Folded Reload
	v_add_u32_e32 v71, v73, v215
	ds_write_b128 v71, v[142:145]
	v_add_u32_e32 v71, v71, v219
	s_waitcnt vmcnt(0)
	ds_write_b128 v71, v[74:77]
	scratch_load_dwordx4 v[74:77], off, off offset:612 ; 16-byte Folded Reload
	v_add_u32_e32 v71, v71, v202
	s_waitcnt vmcnt(0)
	ds_write_b128 v72, v[74:77] offset:32784
	scratch_load_dwordx4 v[74:77], off, off offset:596 ; 16-byte Folded Reload
	v_add3_u32 v72, v72, s11, v202
	s_waitcnt vmcnt(0)
	ds_write_b128 v72, v[74:77]
	scratch_load_dwordx4 v[72:75], off, off offset:548 ; 16-byte Folded Reload
	s_waitcnt vmcnt(0)
	ds_write_b128 v71, v[72:75]
	buffer_load_dwordx4 v[72:75], v70, s[4:7], 0 offen offset:1136
	s_waitcnt vmcnt(0)
	scratch_store_dwordx4 off, v[72:75], off offset:596 ; 16-byte Folded Spill
	buffer_load_dwordx4 v[70:73], v70, s[4:7], 0 offen offset:1120
	s_waitcnt vmcnt(0)
	scratch_store_dwordx4 off, v[70:73], off offset:548 ; 16-byte Folded Spill
	s_nop 1
	v_add_u32_e32 v70, v90, v112
	buffer_load_dwordx4 v[72:75], v70, s[4:7], 0 offen offset:1120
	s_waitcnt vmcnt(0)
	scratch_store_dwordx4 off, v[72:75], off offset:564 ; 16-byte Folded Spill
	scratch_load_dwordx4 v[72:75], off, off offset:64 ; 16-byte Folded Reload
	s_waitcnt vmcnt(0)
	v_mfma_f64_16x16x4_f64 v[26:33], v[154:155], v[72:73], v[26:33]
	v_mfma_f64_16x16x4_f64 v[26:33], v[156:157], v[74:75], v[26:33]
	;; [unrolled: 1-line block ×7, first 2 shown]
	; sched_group_barrier mask(0x00000008) size(3) SyncID(0)
	; sched_group_barrier mask(0x00000020) size(1) SyncID(0)
	v_mfma_f64_16x16x4_f64 v[26:33], v[228:229], v[126:127], v[26:33]
	v_mfma_f64_16x16x4_f64 v[42:49], v[196:197], v[98:99], v[42:49]
	buffer_load_dwordx4 v[96:99], v70, s[4:7], 0 offen offset:1136
	v_mfma_f64_16x16x4_f64 v[26:33], v[230:231], v[128:129], v[26:33]
	v_mfma_f64_16x16x4_f64 v[42:49], v[190:191], v[86:87], v[42:49]
	;; [unrolled: 1-line block ×3, first 2 shown]
	scratch_load_dwordx4 v[86:89], off, off offset:48 ; 16-byte Folded Reload
	v_mfma_f64_16x16x4_f64 v[42:49], v[170:171], v[72:73], v[42:49]
	v_mfma_f64_16x16x4_f64 v[42:49], v[172:173], v[74:75], v[42:49]
	;; [unrolled: 1-line block ×7, first 2 shown]
	; sched_group_barrier mask(0x00000008) size(3) SyncID(0)
	; sched_group_barrier mask(0x00000020) size(1) SyncID(0)
	v_mfma_f64_16x16x4_f64 v[42:49], v[238:239], v[126:127], v[42:49]
	v_mfma_f64_16x16x4_f64 v[2:9], v[154:155], v[162:163], v[2:9]
	;; [unrolled: 1-line block ×4, first 2 shown]
	s_waitcnt vmcnt(1)
	scratch_store_dwordx4 off, v[96:99], off offset:612 ; 16-byte Folded Spill
	buffer_load_dwordx4 v[96:99], v70, s[4:7], 0 offen offset:1104
	v_mfma_f64_16x16x4_f64 v[2:9], v[150:151], v[146:147], v[2:9]
	v_mfma_f64_16x16x4_f64 v[2:9], v[152:153], v[148:149], v[2:9]
	;; [unrolled: 1-line block ×3, first 2 shown]
	; sched_group_barrier mask(0x00000008) size(3) SyncID(0)
	; sched_group_barrier mask(0x00000020) size(1) SyncID(0)
	;; [unrolled: 1-line block ×4, first 2 shown]
	v_mfma_f64_16x16x4_f64 v[2:9], v[114:115], v[182:183], v[2:9]
	v_mfma_f64_16x16x4_f64 v[10:17], v[180:181], v[110:111], v[10:17]
	;; [unrolled: 1-line block ×9, first 2 shown]
	s_waitcnt vmcnt(2)
	v_mfma_f64_16x16x4_f64 v[10:17], v[150:151], v[86:87], v[10:17]
	v_mfma_f64_16x16x4_f64 v[10:17], v[152:153], v[88:89], v[10:17]
	;; [unrolled: 1-line block ×3, first 2 shown]
	; sched_group_barrier mask(0x00000008) size(3) SyncID(0)
	; sched_group_barrier mask(0x00000020) size(1) SyncID(0)
	;; [unrolled: 1-line block ×4, first 2 shown]
	v_mfma_f64_16x16x4_f64 v[10:17], v[114:115], v[138:139], v[10:17]
	v_mfma_f64_16x16x4_f64 v[18:25], v[248:249], v[212:213], v[18:25]
	s_waitcnt vmcnt(0)
	scratch_store_dwordx4 off, v[96:99], off offset:628 ; 16-byte Folded Spill
	buffer_load_dwordx4 v[224:227], v70, s[4:7], 0 offen offset:1088
	buffer_load_dwordx4 v[210:213], v70, s[4:7], 0 offen offset:1024
	v_mfma_f64_16x16x4_f64 v[10:17], v[116:117], v[140:141], v[10:17]
	v_mfma_f64_16x16x4_f64 v[18:25], v[178:179], v[122:123], v[18:25]
	buffer_load_dwordx4 v[96:99], v70, s[4:7], 0 offen offset:1040
	v_mfma_f64_16x16x4_f64 v[10:17], v[228:229], v[134:135], v[10:17]
	v_mfma_f64_16x16x4_f64 v[18:25], v[180:181], v[124:125], v[18:25]
	;; [unrolled: 1-line block ×7, first 2 shown]
	scratch_load_dwordx4 v[108:111], off, off offset:224 ; 16-byte Folded Reload
	s_waitcnt vmcnt(0)
	v_mfma_f64_16x16x4_f64 v[18:25], v[154:155], v[108:109], v[18:25]
	v_mfma_f64_16x16x4_f64 v[18:25], v[156:157], v[110:111], v[18:25]
	;; [unrolled: 1-line block ×4, first 2 shown]
	scratch_load_dwordx4 v[100:103], off, off offset:208 ; 16-byte Folded Reload
	s_waitcnt vmcnt(0)
	v_mfma_f64_16x16x4_f64 v[18:25], v[150:151], v[100:101], v[18:25]
	v_mfma_f64_16x16x4_f64 v[18:25], v[152:153], v[102:103], v[18:25]
	;; [unrolled: 1-line block ×3, first 2 shown]
	; sched_group_barrier mask(0x00000008) size(3) SyncID(0)
	; sched_group_barrier mask(0x00000020) size(1) SyncID(0)
	;; [unrolled: 1-line block ×8, first 2 shown]
	v_mfma_f64_16x16x4_f64 v[18:25], v[114:115], v[104:105], v[18:25]
	v_mfma_f64_16x16x4_f64 v[50:57], v[172:173], v[94:95], v[50:57]
	buffer_load_dwordx4 v[92:95], v70, s[4:7], 0 offen offset:1056
	v_mfma_f64_16x16x4_f64 v[18:25], v[116:117], v[106:107], v[18:25]
	v_mfma_f64_16x16x4_f64 v[50:57], v[166:167], v[86:87], v[50:57]
	;; [unrolled: 1-line block ×5, first 2 shown]
	; sched_group_barrier mask(0x00000008) size(3) SyncID(0)
	; sched_group_barrier mask(0x00000020) size(1) SyncID(0)
	v_mfma_f64_16x16x4_f64 v[18:25], v[230:231], v[84:85], v[18:25]
	v_mfma_f64_16x16x4_f64 v[50:57], v[66:67], v[138:139], v[50:57]
	;; [unrolled: 1-line block ×12, first 2 shown]
	buffer_load_dwordx4 v[100:103], v70, s[4:7], 0 offen offset:1072
	s_waitcnt lgkmcnt(0)
	s_barrier
	scratch_load_dword v1, off, off offset:272 ; 4-byte Folded Reload
	scratch_load_dword v88, off, off offset:692 ; 4-byte Folded Reload
	;; [unrolled: 1-line block ×4, first 2 shown]
	v_mfma_f64_16x16x4_f64 v[58:65], v[66:67], v[104:105], v[58:65]
	scratch_load_dword v66, off, off offset:700 ; 4-byte Folded Reload
	scratch_load_dword v67, off, off offset:720 ; 4-byte Folded Reload
	;; [unrolled: 1-line block ×3, first 2 shown]
	scratch_load_dwordx4 v[142:145], off, off offset:644 ; 16-byte Folded Reload
	; sched_group_barrier mask(0x00000008) size(3) SyncID(0)
	; sched_group_barrier mask(0x00000020) size(1) SyncID(0)
	;; [unrolled: 1-line block ×33, first 2 shown]
	v_mfma_f64_16x16x4_f64 v[58:65], v[68:69], v[106:107], v[58:65]
	scratch_load_dword v68, off, off offset:724 ; 4-byte Folded Reload
	scratch_load_dword v69, off, off offset:736 ; 4-byte Folded Reload
	v_mfma_f64_16x16x4_f64 v[58:65], v[238:239], v[82:83], v[58:65]
	v_mfma_f64_16x16x4_f64 v[58:65], v[240:241], v[84:85], v[58:65]
	s_waitcnt vmcnt(9)
	v_xor_b32_e32 v203, v255, v1
	scratch_load_dword v1, off, off offset:664 ; 4-byte Folded Reload
	s_waitcnt vmcnt(6)
	v_add_u32_e32 v66, v88, v66
	ds_read_b128 v[122:125], v66 offset:57344
	ds_read_b128 v[108:111], v66 offset:57360
	;; [unrolled: 1-line block ×4, first 2 shown]
	scratch_load_dword v78, off, off offset:688 ; 4-byte Folded Reload
	s_waitcnt vmcnt(6)
	v_add_u32_e32 v67, v88, v67
	; sched_group_barrier mask(0x00000100) size(2) SyncID(0)
	; sched_group_barrier mask(0x00000008) size(1) SyncID(0)
	s_waitcnt vmcnt(3)
	v_add_u32_e32 v68, v88, v68
	s_waitcnt vmcnt(2)
	v_add_u32_e32 v69, v88, v69
	s_waitcnt vmcnt(1)
	v_sub_u32_e32 v66, v203, v1
	scratch_load_dword v1, off, off offset:660 ; 4-byte Folded Reload
	v_lshlrev_b32_e32 v66, 2, v66
	v_add3_u32 v199, v79, v218, v66
	scratch_load_dword v79, off, off offset:744 ; 4-byte Folded Reload
	s_waitcnt vmcnt(2)
	v_add_u32_e32 v78, v88, v78
	ds_read_b128 v[104:107], v78 offset:40960
	s_waitcnt lgkmcnt(0)
	scratch_store_dwordx4 off, v[104:107], off offset:16 ; 16-byte Folded Spill
	ds_read_b128 v[104:107], v78 offset:40976
	scratch_load_dword v78, off, off offset:696 ; 4-byte Folded Reload
	s_waitcnt vmcnt(3)
	v_add3_u32 v200, v1, v218, v66
	scratch_load_dword v66, off, off offset:716 ; 4-byte Folded Reload
	s_waitcnt vmcnt(3)
	v_add_u32_e32 v79, v88, v79
	s_waitcnt lgkmcnt(0)
	scratch_store_dwordx4 off, v[104:107], off ; 16-byte Folded Spill
	ds_read_b128 v[162:165], v79 offset:57344
	ds_read_b128 v[146:149], v79 offset:57360
	scratch_load_dword v79, off, off offset:752 ; 4-byte Folded Reload
	s_waitcnt vmcnt(3)
	v_add_u32_e32 v78, v88, v78
	ds_read_b128 v[104:107], v78 offset:49152
	s_waitcnt lgkmcnt(0)
	scratch_store_dwordx4 off, v[104:107], off offset:96 ; 16-byte Folded Spill
	ds_read_b128 v[104:107], v78 offset:49168
	scratch_load_dword v78, off, off offset:740 ; 4-byte Folded Reload
	ds_read_b128 v[118:121], v88 offset:32768
	ds_read_b128 v[220:223], v88 offset:32784
	ds_read_b128 v[74:77], v70
	s_waitcnt lgkmcnt(3)
	scratch_store_dwordx4 off, v[104:107], off offset:32 ; 16-byte Folded Spill
	ds_read_b128 v[70:73], v70 offset:16
	; sched_group_barrier mask(0x00000100) size(2) SyncID(0)
	; sched_group_barrier mask(0x00000008) size(1) SyncID(0)
	;; [unrolled: 1-line block ×10, first 2 shown]
	s_waitcnt vmcnt(5)
	v_add_u32_e32 v66, v88, v66
	ds_read_b128 v[80:83], v66 offset:40960
	v_add_u32_e32 v106, v88, v89
	scratch_load_dword v89, off, off offset:764 ; 4-byte Folded Reload
	ds_read_b128 v[138:141], v106 offset:40960
	ds_read_b128 v[134:137], v106 offset:40976
	s_waitcnt lgkmcnt(2)
	scratch_store_dwordx4 off, v[80:83], off offset:192 ; 16-byte Folded Spill
	ds_read_b128 v[80:83], v66 offset:40976
	s_waitcnt vmcnt(5)
	ds_read_b128 v[114:117], v79 offset:16384
	ds_read_b128 v[228:231], v79 offset:16400
	s_waitcnt lgkmcnt(2)
	scratch_store_dwordx4 off, v[80:83], off offset:176 ; 16-byte Folded Spill
	ds_read_b128 v[80:83], v67 offset:49152
	s_waitcnt lgkmcnt(0)
	scratch_store_dwordx4 off, v[80:83], off offset:160 ; 16-byte Folded Spill
	ds_read_b128 v[80:83], v67 offset:49168
	s_waitcnt vmcnt(5)
	v_add_u32_e32 v78, v88, v78
	s_waitcnt lgkmcnt(0)
	scratch_store_dwordx4 off, v[80:83], off offset:128 ; 16-byte Folded Spill
	ds_read_b128 v[80:83], v68 offset:57344
	ds_read_b128 v[158:161], v78 offset:49168
	s_waitcnt lgkmcnt(1)
	scratch_store_dwordx4 off, v[80:83], off offset:144 ; 16-byte Folded Spill
	ds_read_b128 v[80:83], v68 offset:57360
	s_waitcnt lgkmcnt(0)
	scratch_store_dwordx4 off, v[80:83], off offset:112 ; 16-byte Folded Spill
	ds_read_b128 v[80:83], v69 offset:40960
	ds_read_b128 v[66:69], v69 offset:40976
	s_waitcnt lgkmcnt(1)
	scratch_store_dwordx4 off, v[80:83], off offset:80 ; 16-byte Folded Spill
	s_waitcnt lgkmcnt(0)
	scratch_store_dwordx4 off, v[66:69], off offset:48 ; 16-byte Folded Spill
	ds_read_b128 v[66:69], v78 offset:49152
	scratch_load_dword v78, off, off offset:748 ; 4-byte Folded Reload
	v_mov_b64_e32 v[80:81], v[204:205]
	v_mov_b64_e32 v[82:83], v[206:207]
	;; [unrolled: 1-line block ×3, first 2 shown]
	s_waitcnt lgkmcnt(0)
	scratch_store_dwordx4 off, v[66:69], off offset:64 ; 16-byte Folded Spill
	scratch_load_dword v66, off, off offset:708 ; 4-byte Folded Reload
	v_mov_b64_e32 v[208:209], v[244:245]
	s_waitcnt vmcnt(11)
	v_add_u32_e32 v90, v88, v89
	scratch_load_dword v89, off, off offset:768 ; 4-byte Folded Reload
	ds_read_b128 v[186:189], v90 offset:49152
	ds_read_b128 v[126:129], v90 offset:49168
	s_waitcnt vmcnt(3)
	ds_read_b128 v[238:241], v78 offset:16
	s_waitcnt vmcnt(1)
	ds_read_b128 v[194:197], v66
	ds_read_b128 v[190:193], v66 offset:16
	scratch_load_dword v66, off, off offset:712 ; 4-byte Folded Reload
	s_waitcnt vmcnt(1)
	v_add_u32_e32 v107, v88, v89
	ds_read_b128 v[182:185], v107 offset:57344
	ds_read_b128 v[130:133], v107 offset:57360
	s_waitcnt vmcnt(0)
	ds_read_b128 v[178:181], v66 offset:16384
	ds_read_b128 v[174:177], v66 offset:16400
	scratch_load_dword v66, off, off offset:704 ; 4-byte Folded Reload
	s_waitcnt vmcnt(0)
	ds_read_b128 v[84:87], v66 offset:32768
	ds_read_b128 v[66:69], v66 offset:32784
	s_waitcnt lgkmcnt(1)
	scratch_store_dwordx4 off, v[84:87], off offset:256 ; 16-byte Folded Spill
	s_waitcnt lgkmcnt(0)
	scratch_store_dwordx4 off, v[66:69], off offset:240 ; 16-byte Folded Spill
	scratch_load_dword v66, off, off offset:728 ; 4-byte Folded Reload
	s_waitcnt vmcnt(0)
	ds_read_b128 v[170:173], v66
	ds_read_b128 v[166:169], v66 offset:16
	scratch_load_dword v66, off, off offset:732 ; 4-byte Folded Reload
	scratch_load_dword v67, off, off offset:780 ; 4-byte Folded Reload
	s_waitcnt vmcnt(1)
	ds_read_b128 v[154:157], v66 offset:16384
	ds_read_b128 v[150:153], v66 offset:16400
	scratch_load_dword v66, off, off offset:756 ; 4-byte Folded Reload
	s_waitcnt vmcnt(1)
	ds_read_b128 v[84:87], v67 offset:32768
	s_waitcnt lgkmcnt(0)
	scratch_store_dwordx4 off, v[84:87], off offset:224 ; 16-byte Folded Spill
	ds_read_b128 v[84:87], v67 offset:32784
	s_waitcnt lgkmcnt(0)
	scratch_store_dwordx4 off, v[84:87], off offset:208 ; 16-byte Folded Spill
	s_waitcnt vmcnt(2)
	ds_read_b128 v[104:107], v66 offset:32768
	ds_read_b128 v[242:245], v66 offset:32784
	ds_read_b128 v[66:69], v78
	; sched_barrier mask(0x00000000)
	scratch_load_dword v78, off, off offset:784 ; 4-byte Folded Reload
	s_add_i32 s15, s15, -1
	v_add_u32_e32 v112, 0x200, v112
	v_add_u32_e32 v91, 0x200, v91
	;; [unrolled: 1-line block ×3, first 2 shown]
	s_cmp_lg_u32 s15, 0
	v_add_u32_e32 v88, 0x200, v217
	s_waitcnt vmcnt(0)
	v_add_u32_e32 v0, v0, v78
	s_cbranch_scc1 .LBB1_11
; %bb.12:
	scratch_load_dwordx4 v[82:85], off, off offset:16 ; 16-byte Folded Reload
	scratch_load_dwordx4 v[78:81], off, off ; 16-byte Folded Reload
	scratch_load_dwordx4 v[86:89], off, off offset:96 ; 16-byte Folded Reload
	v_mov_b64_e32 v[90:91], v[118:119]
	v_mov_b64_e32 v[92:93], v[120:121]
	;; [unrolled: 1-line block ×4, first 2 shown]
	scratch_load_dwordx4 v[220:223], off, off offset:32 ; 16-byte Folded Reload
	v_mfma_f64_16x16x4_f64 v[58:65], v[74:75], v[90:91], v[58:65]
	scratch_load_dwordx4 v[98:101], off, off offset:256 ; 16-byte Folded Reload
	scratch_load_dwordx4 v[94:97], off, off offset:240 ; 16-byte Folded Reload
	s_ashr_i32 s11, s10, 31
	v_mfma_f64_16x16x4_f64 v[18:25], v[250:251], v[90:91], v[18:25]
	s_lshl_b64 s[0:1], s[10:11], 3
	s_add_u32 s18, s8, s0
	s_addc_u32 s19, s9, s1
	v_mfma_f64_16x16x4_f64 v[58:65], v[76:77], v[92:93], v[58:65]
	v_mfma_f64_16x16x4_f64 v[34:41], v[74:75], v[122:123], v[34:41]
	;; [unrolled: 1-line block ×4, first 2 shown]
	scratch_load_dwordx4 v[90:93], off, off offset:192 ; 16-byte Folded Reload
	v_mfma_f64_16x16x4_f64 v[58:65], v[70:71], v[118:119], v[58:65]
	v_mfma_f64_16x16x4_f64 v[34:41], v[76:77], v[124:125], v[34:41]
	;; [unrolled: 1-line block ×10, first 2 shown]
	s_waitcnt vmcnt(6)
	v_mfma_f64_16x16x4_f64 v[50:57], v[74:75], v[82:83], v[50:57]
	v_mfma_f64_16x16x4_f64 v[10:17], v[250:251], v[82:83], v[10:17]
	s_waitcnt vmcnt(4)
	v_mfma_f64_16x16x4_f64 v[42:49], v[74:75], v[86:87], v[42:49]
	v_mfma_f64_16x16x4_f64 v[26:33], v[250:251], v[86:87], v[26:33]
	v_mfma_f64_16x16x4_f64 v[50:57], v[76:77], v[84:85], v[50:57]
	v_mfma_f64_16x16x4_f64 v[10:17], v[252:253], v[84:85], v[10:17]
	scratch_load_dwordx4 v[82:85], off, off offset:160 ; 16-byte Folded Reload
	v_mfma_f64_16x16x4_f64 v[42:49], v[76:77], v[88:89], v[42:49]
	scratch_load_dwordx4 v[74:77], off, off offset:128 ; 16-byte Folded Reload
	v_mfma_f64_16x16x4_f64 v[26:33], v[252:253], v[88:89], v[26:33]
	scratch_load_dwordx4 v[86:89], off, off offset:176 ; 16-byte Folded Reload
	s_waitcnt vmcnt(5)
	v_mfma_f64_16x16x4_f64 v[58:65], v[194:195], v[98:99], v[58:65]
	v_mfma_f64_16x16x4_f64 v[50:57], v[70:71], v[78:79], v[50:57]
	;; [unrolled: 1-line block ×9, first 2 shown]
	scratch_load_dwordx4 v[78:81], off, off offset:144 ; 16-byte Folded Reload
	v_mfma_f64_16x16x4_f64 v[42:49], v[72:73], v[222:223], v[42:49]
	scratch_load_dwordx4 v[70:73], off, off offset:112 ; 16-byte Folded Reload
	v_mfma_f64_16x16x4_f64 v[26:33], v[248:249], v[222:223], v[26:33]
	v_mfma_f64_16x16x4_f64 v[18:25], v[180:181], v[100:101], v[18:25]
	s_waitcnt vmcnt(6)
	v_mfma_f64_16x16x4_f64 v[58:65], v[190:191], v[94:95], v[58:65]
	s_waitcnt vmcnt(5)
	v_mfma_f64_16x16x4_f64 v[50:57], v[194:195], v[90:91], v[50:57]
	v_mfma_f64_16x16x4_f64 v[10:17], v[178:179], v[90:91], v[10:17]
	;; [unrolled: 1-line block ×7, first 2 shown]
	s_waitcnt vmcnt(4)
	v_mfma_f64_16x16x4_f64 v[42:49], v[194:195], v[82:83], v[42:49]
	v_mfma_f64_16x16x4_f64 v[26:33], v[178:179], v[82:83], v[26:33]
	s_waitcnt vmcnt(2)
	v_mfma_f64_16x16x4_f64 v[50:57], v[190:191], v[86:87], v[50:57]
	v_mfma_f64_16x16x4_f64 v[10:17], v[174:175], v[86:87], v[10:17]
	;; [unrolled: 1-line block ×4, first 2 shown]
	scratch_load_dwordx4 v[82:85], off, off offset:208 ; 16-byte Folded Reload
	v_mfma_f64_16x16x4_f64 v[50:57], v[192:193], v[88:89], v[50:57]
	v_mfma_f64_16x16x4_f64 v[10:17], v[176:177], v[88:89], v[10:17]
	scratch_load_dwordx4 v[86:89], off, off offset:224 ; 16-byte Folded Reload
	v_mfma_f64_16x16x4_f64 v[42:49], v[190:191], v[74:75], v[42:49]
	s_waitcnt vmcnt(3)
	v_mfma_f64_16x16x4_f64 v[34:41], v[194:195], v[78:79], v[34:41]
	v_mfma_f64_16x16x4_f64 v[26:33], v[174:175], v[74:75], v[26:33]
	;; [unrolled: 1-line block ×6, first 2 shown]
	scratch_load_dwordx4 v[74:77], off, off offset:64 ; 16-byte Folded Reload
	v_mfma_f64_16x16x4_f64 v[2:9], v[180:181], v[80:81], v[2:9]
	scratch_load_dwordx4 v[78:81], off, off offset:80 ; 16-byte Folded Reload
	s_waitcnt vmcnt(4)
	v_mfma_f64_16x16x4_f64 v[34:41], v[190:191], v[70:71], v[34:41]
	v_mfma_f64_16x16x4_f64 v[2:9], v[174:175], v[70:71], v[2:9]
	;; [unrolled: 1-line block ×4, first 2 shown]
	scratch_load_dwordx4 v[70:73], off, off offset:48 ; 16-byte Folded Reload
	v_mfma_f64_16x16x4_f64 v[34:41], v[170:171], v[162:163], v[34:41]
	v_mfma_f64_16x16x4_f64 v[2:9], v[154:155], v[162:163], v[2:9]
	v_mfma_f64_16x16x4_f64 v[34:41], v[172:173], v[164:165], v[34:41]
	v_mfma_f64_16x16x4_f64 v[2:9], v[156:157], v[164:165], v[2:9]
	v_mfma_f64_16x16x4_f64 v[34:41], v[166:167], v[146:147], v[34:41]
	v_mfma_f64_16x16x4_f64 v[2:9], v[150:151], v[146:147], v[2:9]
	v_mfma_f64_16x16x4_f64 v[34:41], v[168:169], v[148:149], v[34:41]
	v_mfma_f64_16x16x4_f64 v[2:9], v[152:153], v[148:149], v[2:9]
	s_waitcnt lgkmcnt(0)
	v_mfma_f64_16x16x4_f64 v[34:41], v[66:67], v[182:183], v[34:41]
	v_mfma_f64_16x16x4_f64 v[2:9], v[114:115], v[182:183], v[2:9]
	v_mfma_f64_16x16x4_f64 v[34:41], v[68:69], v[184:185], v[34:41]
	v_mfma_f64_16x16x4_f64 v[2:9], v[116:117], v[184:185], v[2:9]
	s_waitcnt vmcnt(3)
	v_mfma_f64_16x16x4_f64 v[58:65], v[170:171], v[86:87], v[58:65]
	v_mfma_f64_16x16x4_f64 v[18:25], v[154:155], v[86:87], v[18:25]
	;; [unrolled: 1-line block ×7, first 2 shown]
	s_waitcnt vmcnt(2)
	v_mfma_f64_16x16x4_f64 v[42:49], v[170:171], v[74:75], v[42:49]
	v_mfma_f64_16x16x4_f64 v[26:33], v[154:155], v[74:75], v[26:33]
	s_waitcnt vmcnt(1)
	v_mfma_f64_16x16x4_f64 v[50:57], v[170:171], v[78:79], v[50:57]
	v_mfma_f64_16x16x4_f64 v[58:65], v[166:167], v[82:83], v[58:65]
	v_mfma_f64_16x16x4_f64 v[10:17], v[154:155], v[78:79], v[10:17]
	v_mfma_f64_16x16x4_f64 v[18:25], v[150:151], v[82:83], v[18:25]
	v_mfma_f64_16x16x4_f64 v[2:9], v[230:231], v[132:133], v[2:9]
	v_mfma_f64_16x16x4_f64 v[42:49], v[172:173], v[76:77], v[42:49]
	v_mfma_f64_16x16x4_f64 v[26:33], v[156:157], v[76:77], v[26:33]
	v_mfma_f64_16x16x4_f64 v[50:57], v[172:173], v[80:81], v[50:57]
	v_mfma_f64_16x16x4_f64 v[58:65], v[168:169], v[84:85], v[58:65]
	v_mfma_f64_16x16x4_f64 v[10:17], v[156:157], v[80:81], v[10:17]
	v_mfma_f64_16x16x4_f64 v[18:25], v[152:153], v[84:85], v[18:25]
	v_mfma_f64_16x16x4_f64 v[42:49], v[166:167], v[158:159], v[42:49]
	v_mfma_f64_16x16x4_f64 v[26:33], v[150:151], v[158:159], v[26:33]
	s_waitcnt vmcnt(0)
	v_mfma_f64_16x16x4_f64 v[50:57], v[166:167], v[70:71], v[50:57]
	v_mfma_f64_16x16x4_f64 v[58:65], v[66:67], v[104:105], v[58:65]
	v_mfma_f64_16x16x4_f64 v[10:17], v[150:151], v[70:71], v[10:17]
	v_mfma_f64_16x16x4_f64 v[18:25], v[114:115], v[104:105], v[18:25]
	v_mfma_f64_16x16x4_f64 v[42:49], v[168:169], v[160:161], v[42:49]
	v_mfma_f64_16x16x4_f64 v[26:33], v[152:153], v[160:161], v[26:33]
	v_mfma_f64_16x16x4_f64 v[50:57], v[168:169], v[72:73], v[50:57]
	v_mfma_f64_16x16x4_f64 v[58:65], v[68:69], v[106:107], v[58:65]
	v_mfma_f64_16x16x4_f64 v[10:17], v[152:153], v[72:73], v[10:17]
	v_mfma_f64_16x16x4_f64 v[18:25], v[116:117], v[106:107], v[18:25]
	v_mfma_f64_16x16x4_f64 v[42:49], v[66:67], v[186:187], v[42:49]
	v_mfma_f64_16x16x4_f64 v[26:33], v[114:115], v[186:187], v[26:33]
	v_mfma_f64_16x16x4_f64 v[50:57], v[66:67], v[138:139], v[50:57]
	scratch_load_dword v66, off, off offset:788 ; 4-byte Folded Reload
	scratch_load_dword v67, off, off offset:796 ; 4-byte Folded Reload
	v_mfma_f64_16x16x4_f64 v[10:17], v[114:115], v[138:139], v[10:17]
	v_mfma_f64_16x16x4_f64 v[58:65], v[238:239], v[242:243], v[58:65]
	;; [unrolled: 1-line block ×17, first 2 shown]
	s_waitcnt vmcnt(1)
	v_lshlrev_b32_e32 v0, 3, v66
	v_lshlrev_b32_e32 v66, 1, v66
	v_and_b32_e32 v1, 0x200, v0
	v_and_b32_e32 v66, 0x60, v66
	s_waitcnt vmcnt(0)
	v_or3_b32 v67, v66, v1, v67
	scratch_load_dword v1, off, off offset:792 ; 4-byte Folded Reload
	s_waitcnt lgkmcnt(0)
	s_barrier
	v_and_b32_e32 v0, 24, v0
	v_or_b32_e32 v66, s13, v0
	v_cmp_gt_i32_e32 vcc, s17, v66
	s_waitcnt vmcnt(0)
	v_lshl_or_b32 v68, s12, 6, v1
	v_lshl_or_b32 v69, v1, 5, v0
	v_mad_u64_u32 v[0:1], s[0:1], v68, s21, v[66:67]
	v_lshlrev_b32_e32 v67, 3, v67
	v_add_u32_e32 v1, 0x800, v67
	ds_write2_b64 v1, v[64:65], v[56:57] offset0:128 offset1:144
	ds_write2_b64 v1, v[62:63], v[54:55] offset1:16
	ds_write2_b64 v67, v[60:61], v[52:53] offset0:128 offset1:144
	ds_write2_b64 v67, v[58:59], v[50:51] offset1:16
	s_waitcnt lgkmcnt(0)
	s_barrier
	v_cmp_gt_i32_e64 s[6:7], s16, v68
	s_and_b64 s[2:3], s[6:7], vcc
	v_ashrrev_i32_e32 v1, 31, v0
	v_lshlrev_b32_e32 v50, 3, v69
	s_and_saveexec_b64 s[0:1], s[2:3]
	s_cbranch_execz .LBB1_14
; %bb.13:
	ds_read_b128 v[52:55], v50
	v_lshl_add_u64 v[56:57], v[0:1], 3, s[18:19]
	s_waitcnt lgkmcnt(0)
	global_atomic_add_f64 v[56:57], v[52:53], off
	global_atomic_add_f64 v[56:57], v[54:55], off offset:8
.LBB1_14:
	s_or_b64 exec, exec, s[0:1]
	v_or_b32_e32 v51, 2, v66
	v_cmp_gt_i32_e64 s[0:1], s17, v51
	s_and_b64 s[4:5], s[6:7], s[0:1]
	s_and_saveexec_b64 s[2:3], s[4:5]
	s_cbranch_execz .LBB1_16
; %bb.15:
	ds_read_b128 v[52:55], v50 offset:16
	v_lshl_add_u64 v[56:57], v[0:1], 3, s[18:19]
	s_waitcnt lgkmcnt(0)
	global_atomic_add_f64 v[56:57], v[52:53], off offset:16
	global_atomic_add_f64 v[56:57], v[54:55], off offset:24
.LBB1_16:
	s_or_b64 exec, exec, s[2:3]
	v_or_b32_e32 v51, 4, v66
	v_cmp_gt_i32_e64 s[2:3], s17, v51
	s_and_b64 s[8:9], s[6:7], s[2:3]
	s_and_saveexec_b64 s[4:5], s[8:9]
	s_cbranch_execz .LBB1_18
; %bb.17:
	ds_read_b128 v[52:55], v50 offset:32
	v_lshl_add_u64 v[56:57], v[0:1], 3, s[18:19]
	s_waitcnt lgkmcnt(0)
	global_atomic_add_f64 v[56:57], v[52:53], off offset:32
	global_atomic_add_f64 v[56:57], v[54:55], off offset:40
.LBB1_18:
	;; [unrolled: 13-line block ×3, first 2 shown]
	s_or_b64 exec, exec, s[8:9]
	v_or_b32_e32 v51, 32, v66
	v_cmp_gt_i32_e64 s[8:9], s17, v51
	v_add_u32_e32 v52, 0x800, v67
	s_and_b64 s[12:13], s[6:7], s[8:9]
	s_waitcnt lgkmcnt(0)
	s_barrier
	ds_write2_b64 v52, v[48:49], v[40:41] offset0:128 offset1:144
	ds_write2_b64 v52, v[46:47], v[38:39] offset1:16
	ds_write2_b64 v67, v[44:45], v[36:37] offset0:128 offset1:144
	ds_write2_b64 v67, v[42:43], v[34:35] offset1:16
	s_waitcnt lgkmcnt(0)
	s_barrier
	s_and_saveexec_b64 s[10:11], s[12:13]
	s_cbranch_execz .LBB1_22
; %bb.21:
	ds_read_b128 v[34:37], v50
	v_lshl_add_u64 v[38:39], v[0:1], 3, s[18:19]
	s_waitcnt lgkmcnt(0)
	global_atomic_add_f64 v[38:39], v[34:35], off offset:256
	global_atomic_add_f64 v[38:39], v[36:37], off offset:264
.LBB1_22:
	s_or_b64 exec, exec, s[10:11]
	v_or_b32_e32 v34, 34, v66
	v_cmp_gt_i32_e64 s[10:11], s17, v34
	s_and_b64 s[14:15], s[6:7], s[10:11]
	s_and_saveexec_b64 s[12:13], s[14:15]
	s_cbranch_execz .LBB1_24
; %bb.23:
	ds_read_b128 v[34:37], v50 offset:16
	v_lshl_add_u64 v[38:39], v[0:1], 3, s[18:19]
	s_waitcnt lgkmcnt(0)
	global_atomic_add_f64 v[38:39], v[34:35], off offset:272
	global_atomic_add_f64 v[38:39], v[36:37], off offset:280
.LBB1_24:
	s_or_b64 exec, exec, s[12:13]
	v_or_b32_e32 v34, 36, v66
	v_cmp_gt_i32_e64 s[12:13], s17, v34
	s_and_b64 s[22:23], s[6:7], s[12:13]
	s_and_saveexec_b64 s[14:15], s[22:23]
	s_cbranch_execz .LBB1_26
; %bb.25:
	ds_read_b128 v[34:37], v50 offset:32
	v_lshl_add_u64 v[38:39], v[0:1], 3, s[18:19]
	s_waitcnt lgkmcnt(0)
	global_atomic_add_f64 v[38:39], v[34:35], off offset:288
	global_atomic_add_f64 v[38:39], v[36:37], off offset:296
.LBB1_26:
	;; [unrolled: 13-line block ×3, first 2 shown]
	s_or_b64 exec, exec, s[6:7]
	v_or_b32_e32 v1, 32, v68
	s_lshl_b32 s17, s21, 5
	v_add3_u32 v34, v0, s17, 32
	v_add_u32_e32 v35, 0x800, v67
	v_cmp_gt_i32_e64 s[6:7], s16, v1
	s_waitcnt lgkmcnt(0)
	s_barrier
	ds_write2_b64 v35, v[32:33], v[8:9] offset0:128 offset1:144
	ds_write2_b64 v35, v[30:31], v[6:7] offset1:16
	ds_write2_b64 v67, v[28:29], v[4:5] offset0:128 offset1:144
	ds_write2_b64 v67, v[26:27], v[2:3] offset1:16
	s_and_b64 s[20:21], s[6:7], s[8:9]
	v_ashrrev_i32_e32 v35, 31, v34
	s_waitcnt lgkmcnt(0)
	s_barrier
	s_and_saveexec_b64 s[8:9], s[20:21]
	s_cbranch_execnz .LBB1_38
; %bb.29:
	s_or_b64 exec, exec, s[8:9]
	s_and_b64 s[10:11], s[10:11], s[6:7]
	s_and_saveexec_b64 s[8:9], s[10:11]
	s_cbranch_execnz .LBB1_39
.LBB1_30:
	s_or_b64 exec, exec, s[8:9]
	s_and_b64 s[10:11], s[12:13], s[6:7]
	s_and_saveexec_b64 s[8:9], s[10:11]
	s_cbranch_execnz .LBB1_40
.LBB1_31:
	s_or_b64 exec, exec, s[8:9]
	s_and_b64 s[10:11], s[14:15], s[6:7]
	s_and_saveexec_b64 s[8:9], s[10:11]
	s_cbranch_execz .LBB1_33
.LBB1_32:
	ds_read_b128 v[2:5], v50 offset:48
	v_lshl_add_u64 v[6:7], v[34:35], 3, s[18:19]
	s_waitcnt lgkmcnt(0)
	global_atomic_add_f64 v[6:7], v[2:3], off offset:48
	global_atomic_add_f64 v[6:7], v[4:5], off offset:56
.LBB1_33:
	s_or_b64 exec, exec, s[8:9]
	v_add_u32_e32 v0, s17, v0
	v_add_u32_e32 v1, 0x800, v67
	s_waitcnt lgkmcnt(0)
	s_barrier
	ds_write2_b64 v1, v[24:25], v[16:17] offset0:128 offset1:144
	ds_write2_b64 v1, v[22:23], v[14:15] offset1:16
	ds_write2_b64 v67, v[20:21], v[12:13] offset0:128 offset1:144
	ds_write2_b64 v67, v[18:19], v[10:11] offset1:16
	s_and_b64 s[10:11], vcc, s[6:7]
	v_ashrrev_i32_e32 v1, 31, v0
	s_waitcnt lgkmcnt(0)
	s_barrier
	s_and_saveexec_b64 s[8:9], s[10:11]
	s_cbranch_execnz .LBB1_41
; %bb.34:
	s_or_b64 exec, exec, s[8:9]
	s_and_b64 s[8:9], s[0:1], s[6:7]
	s_and_saveexec_b64 s[0:1], s[8:9]
	s_cbranch_execnz .LBB1_42
.LBB1_35:
	s_or_b64 exec, exec, s[0:1]
	s_and_b64 s[2:3], s[2:3], s[6:7]
	s_and_saveexec_b64 s[0:1], s[2:3]
	s_cbranch_execnz .LBB1_43
.LBB1_36:
	s_or_b64 exec, exec, s[0:1]
	s_and_b64 s[0:1], s[4:5], s[6:7]
	s_and_saveexec_b64 s[2:3], s[0:1]
	s_cbranch_execnz .LBB1_44
.LBB1_37:
	s_endpgm
.LBB1_38:
	ds_read_b128 v[2:5], v50
	v_lshl_add_u64 v[6:7], v[34:35], 3, s[18:19]
	s_waitcnt lgkmcnt(0)
	global_atomic_add_f64 v[6:7], v[2:3], off
	global_atomic_add_f64 v[6:7], v[4:5], off offset:8
	s_or_b64 exec, exec, s[8:9]
	s_and_b64 s[10:11], s[10:11], s[6:7]
	s_and_saveexec_b64 s[8:9], s[10:11]
	s_cbranch_execz .LBB1_30
.LBB1_39:
	ds_read_b128 v[2:5], v50 offset:16
	v_lshl_add_u64 v[6:7], v[34:35], 3, s[18:19]
	s_waitcnt lgkmcnt(0)
	global_atomic_add_f64 v[6:7], v[2:3], off offset:16
	global_atomic_add_f64 v[6:7], v[4:5], off offset:24
	s_or_b64 exec, exec, s[8:9]
	s_and_b64 s[10:11], s[12:13], s[6:7]
	s_and_saveexec_b64 s[8:9], s[10:11]
	s_cbranch_execz .LBB1_31
.LBB1_40:
	ds_read_b128 v[2:5], v50 offset:32
	v_lshl_add_u64 v[6:7], v[34:35], 3, s[18:19]
	s_waitcnt lgkmcnt(0)
	global_atomic_add_f64 v[6:7], v[2:3], off offset:32
	global_atomic_add_f64 v[6:7], v[4:5], off offset:40
	s_or_b64 exec, exec, s[8:9]
	s_and_b64 s[10:11], s[14:15], s[6:7]
	s_and_saveexec_b64 s[8:9], s[10:11]
	s_cbranch_execnz .LBB1_32
	s_branch .LBB1_33
.LBB1_41:
	ds_read_b128 v[2:5], v50
	v_lshl_add_u64 v[6:7], v[0:1], 3, s[18:19]
	s_waitcnt lgkmcnt(0)
	global_atomic_add_f64 v[6:7], v[2:3], off
	global_atomic_add_f64 v[6:7], v[4:5], off offset:8
	s_or_b64 exec, exec, s[8:9]
	s_and_b64 s[8:9], s[0:1], s[6:7]
	s_and_saveexec_b64 s[0:1], s[8:9]
	s_cbranch_execz .LBB1_35
.LBB1_42:
	ds_read_b128 v[2:5], v50 offset:16
	v_lshl_add_u64 v[6:7], v[0:1], 3, s[18:19]
	s_waitcnt lgkmcnt(0)
	global_atomic_add_f64 v[6:7], v[2:3], off offset:16
	global_atomic_add_f64 v[6:7], v[4:5], off offset:24
	s_or_b64 exec, exec, s[0:1]
	s_and_b64 s[2:3], s[2:3], s[6:7]
	s_and_saveexec_b64 s[0:1], s[2:3]
	s_cbranch_execz .LBB1_36
.LBB1_43:
	ds_read_b128 v[2:5], v50 offset:32
	v_lshl_add_u64 v[6:7], v[0:1], 3, s[18:19]
	s_waitcnt lgkmcnt(0)
	global_atomic_add_f64 v[6:7], v[2:3], off offset:32
	global_atomic_add_f64 v[6:7], v[4:5], off offset:40
	s_or_b64 exec, exec, s[0:1]
	s_and_b64 s[0:1], s[4:5], s[6:7]
	s_and_saveexec_b64 s[2:3], s[0:1]
	s_cbranch_execz .LBB1_37
.LBB1_44:
	ds_read_b128 v[2:5], v50 offset:48
	v_lshl_add_u64 v[0:1], v[0:1], 3, s[18:19]
	s_waitcnt lgkmcnt(0)
	global_atomic_add_f64 v[0:1], v[2:3], off offset:48
	global_atomic_add_f64 v[0:1], v[4:5], off offset:56
	s_endpgm
	.section	.rodata,"a",@progbits
	.p2align	6, 0x0
	.amdhsa_kernel _ZN2ck27kernel_gemm_xdl_cshuffle_v3INS_28GridwiseGemm_xdl_cshuffle_v3INS_13tensor_layout4gemm8RowMajorENS3_11ColumnMajorES4_dddddNS_16tensor_operation12element_wise11PassThroughES8_S8_LNS6_6device18GemmSpecializationE0ELi128ELi64ELi64ELi64ELi4ELi4ELi16ELi16ELi2ELi4ENS_8SequenceIJLi4ELi32ELi1EEEENSB_IJLi1ELi0ELi2EEEESD_Li2ELi2ELi2ELb0ELi0ESC_SD_SD_Li2ELi2ELi2ELb0ELi0ELi1ELi2ENSB_IJLi1ELi32ELi1ELi4EEEELi2ELNS_26BlockGemmPipelineSchedulerE0ELNS_24BlockGemmPipelineVersionE2EddLb0ELb0ELb0ELi0ELb0EEELb1ELNS_25InMemoryDataOperationEnumE1ELi2ELNS_10TailNumberE10EEEvNT_8ArgumentE
		.amdhsa_group_segment_fixed_size 65536
		.amdhsa_private_segment_fixed_size 804
		.amdhsa_kernarg_size 112
		.amdhsa_user_sgpr_count 2
		.amdhsa_user_sgpr_dispatch_ptr 0
		.amdhsa_user_sgpr_queue_ptr 0
		.amdhsa_user_sgpr_kernarg_segment_ptr 1
		.amdhsa_user_sgpr_dispatch_id 0
		.amdhsa_user_sgpr_kernarg_preload_length 0
		.amdhsa_user_sgpr_kernarg_preload_offset 0
		.amdhsa_user_sgpr_private_segment_size 0
		.amdhsa_uses_dynamic_stack 0
		.amdhsa_enable_private_segment 1
		.amdhsa_system_sgpr_workgroup_id_x 1
		.amdhsa_system_sgpr_workgroup_id_y 0
		.amdhsa_system_sgpr_workgroup_id_z 1
		.amdhsa_system_sgpr_workgroup_info 0
		.amdhsa_system_vgpr_workitem_id 0
		.amdhsa_next_free_vgpr 256
		.amdhsa_next_free_sgpr 27
		.amdhsa_accum_offset 256
		.amdhsa_reserve_vcc 1
		.amdhsa_float_round_mode_32 0
		.amdhsa_float_round_mode_16_64 0
		.amdhsa_float_denorm_mode_32 3
		.amdhsa_float_denorm_mode_16_64 3
		.amdhsa_dx10_clamp 1
		.amdhsa_ieee_mode 1
		.amdhsa_fp16_overflow 0
		.amdhsa_tg_split 0
		.amdhsa_exception_fp_ieee_invalid_op 0
		.amdhsa_exception_fp_denorm_src 0
		.amdhsa_exception_fp_ieee_div_zero 0
		.amdhsa_exception_fp_ieee_overflow 0
		.amdhsa_exception_fp_ieee_underflow 0
		.amdhsa_exception_fp_ieee_inexact 0
		.amdhsa_exception_int_div_zero 0
	.end_amdhsa_kernel
	.section	.text._ZN2ck27kernel_gemm_xdl_cshuffle_v3INS_28GridwiseGemm_xdl_cshuffle_v3INS_13tensor_layout4gemm8RowMajorENS3_11ColumnMajorES4_dddddNS_16tensor_operation12element_wise11PassThroughES8_S8_LNS6_6device18GemmSpecializationE0ELi128ELi64ELi64ELi64ELi4ELi4ELi16ELi16ELi2ELi4ENS_8SequenceIJLi4ELi32ELi1EEEENSB_IJLi1ELi0ELi2EEEESD_Li2ELi2ELi2ELb0ELi0ESC_SD_SD_Li2ELi2ELi2ELb0ELi0ELi1ELi2ENSB_IJLi1ELi32ELi1ELi4EEEELi2ELNS_26BlockGemmPipelineSchedulerE0ELNS_24BlockGemmPipelineVersionE2EddLb0ELb0ELb0ELi0ELb0EEELb1ELNS_25InMemoryDataOperationEnumE1ELi2ELNS_10TailNumberE10EEEvNT_8ArgumentE,"axG",@progbits,_ZN2ck27kernel_gemm_xdl_cshuffle_v3INS_28GridwiseGemm_xdl_cshuffle_v3INS_13tensor_layout4gemm8RowMajorENS3_11ColumnMajorES4_dddddNS_16tensor_operation12element_wise11PassThroughES8_S8_LNS6_6device18GemmSpecializationE0ELi128ELi64ELi64ELi64ELi4ELi4ELi16ELi16ELi2ELi4ENS_8SequenceIJLi4ELi32ELi1EEEENSB_IJLi1ELi0ELi2EEEESD_Li2ELi2ELi2ELb0ELi0ESC_SD_SD_Li2ELi2ELi2ELb0ELi0ELi1ELi2ENSB_IJLi1ELi32ELi1ELi4EEEELi2ELNS_26BlockGemmPipelineSchedulerE0ELNS_24BlockGemmPipelineVersionE2EddLb0ELb0ELb0ELi0ELb0EEELb1ELNS_25InMemoryDataOperationEnumE1ELi2ELNS_10TailNumberE10EEEvNT_8ArgumentE,comdat
.Lfunc_end1:
	.size	_ZN2ck27kernel_gemm_xdl_cshuffle_v3INS_28GridwiseGemm_xdl_cshuffle_v3INS_13tensor_layout4gemm8RowMajorENS3_11ColumnMajorES4_dddddNS_16tensor_operation12element_wise11PassThroughES8_S8_LNS6_6device18GemmSpecializationE0ELi128ELi64ELi64ELi64ELi4ELi4ELi16ELi16ELi2ELi4ENS_8SequenceIJLi4ELi32ELi1EEEENSB_IJLi1ELi0ELi2EEEESD_Li2ELi2ELi2ELb0ELi0ESC_SD_SD_Li2ELi2ELi2ELb0ELi0ELi1ELi2ENSB_IJLi1ELi32ELi1ELi4EEEELi2ELNS_26BlockGemmPipelineSchedulerE0ELNS_24BlockGemmPipelineVersionE2EddLb0ELb0ELb0ELi0ELb0EEELb1ELNS_25InMemoryDataOperationEnumE1ELi2ELNS_10TailNumberE10EEEvNT_8ArgumentE, .Lfunc_end1-_ZN2ck27kernel_gemm_xdl_cshuffle_v3INS_28GridwiseGemm_xdl_cshuffle_v3INS_13tensor_layout4gemm8RowMajorENS3_11ColumnMajorES4_dddddNS_16tensor_operation12element_wise11PassThroughES8_S8_LNS6_6device18GemmSpecializationE0ELi128ELi64ELi64ELi64ELi4ELi4ELi16ELi16ELi2ELi4ENS_8SequenceIJLi4ELi32ELi1EEEENSB_IJLi1ELi0ELi2EEEESD_Li2ELi2ELi2ELb0ELi0ESC_SD_SD_Li2ELi2ELi2ELb0ELi0ELi1ELi2ENSB_IJLi1ELi32ELi1ELi4EEEELi2ELNS_26BlockGemmPipelineSchedulerE0ELNS_24BlockGemmPipelineVersionE2EddLb0ELb0ELb0ELi0ELb0EEELb1ELNS_25InMemoryDataOperationEnumE1ELi2ELNS_10TailNumberE10EEEvNT_8ArgumentE
                                        ; -- End function
	.section	.AMDGPU.csdata,"",@progbits
; Kernel info:
; codeLenInByte = 10576
; NumSgprs: 33
; NumVgprs: 256
; NumAgprs: 0
; TotalNumVgprs: 256
; ScratchSize: 804
; MemoryBound: 0
; FloatMode: 240
; IeeeMode: 1
; LDSByteSize: 65536 bytes/workgroup (compile time only)
; SGPRBlocks: 4
; VGPRBlocks: 31
; NumSGPRsForWavesPerEU: 33
; NumVGPRsForWavesPerEU: 256
; AccumOffset: 256
; Occupancy: 1
; WaveLimiterHint : 0
; COMPUTE_PGM_RSRC2:SCRATCH_EN: 1
; COMPUTE_PGM_RSRC2:USER_SGPR: 2
; COMPUTE_PGM_RSRC2:TRAP_HANDLER: 0
; COMPUTE_PGM_RSRC2:TGID_X_EN: 1
; COMPUTE_PGM_RSRC2:TGID_Y_EN: 0
; COMPUTE_PGM_RSRC2:TGID_Z_EN: 1
; COMPUTE_PGM_RSRC2:TIDIG_COMP_CNT: 0
; COMPUTE_PGM_RSRC3_GFX90A:ACCUM_OFFSET: 63
; COMPUTE_PGM_RSRC3_GFX90A:TG_SPLIT: 0
	.section	.text._ZN2ck27kernel_gemm_xdl_cshuffle_v3INS_28GridwiseGemm_xdl_cshuffle_v3INS_13tensor_layout4gemm8RowMajorENS3_11ColumnMajorES4_dddddNS_16tensor_operation12element_wise11PassThroughES8_S8_LNS6_6device18GemmSpecializationE0ELi128ELi64ELi64ELi64ELi4ELi4ELi16ELi16ELi2ELi4ENS_8SequenceIJLi4ELi32ELi1EEEENSB_IJLi1ELi0ELi2EEEESD_Li2ELi2ELi2ELb0ELi0ESC_SD_SD_Li2ELi2ELi2ELb0ELi0ELi1ELi2ENSB_IJLi1ELi32ELi1ELi4EEEELi2ELNS_26BlockGemmPipelineSchedulerE0ELNS_24BlockGemmPipelineVersionE2EddLb0ELb0ELb0ELi0ELb0EEELb1ELNS_25InMemoryDataOperationEnumE0ELi2ELNS_10TailNumberE10EEEvNT_8ArgumentE,"axG",@progbits,_ZN2ck27kernel_gemm_xdl_cshuffle_v3INS_28GridwiseGemm_xdl_cshuffle_v3INS_13tensor_layout4gemm8RowMajorENS3_11ColumnMajorES4_dddddNS_16tensor_operation12element_wise11PassThroughES8_S8_LNS6_6device18GemmSpecializationE0ELi128ELi64ELi64ELi64ELi4ELi4ELi16ELi16ELi2ELi4ENS_8SequenceIJLi4ELi32ELi1EEEENSB_IJLi1ELi0ELi2EEEESD_Li2ELi2ELi2ELb0ELi0ESC_SD_SD_Li2ELi2ELi2ELb0ELi0ELi1ELi2ENSB_IJLi1ELi32ELi1ELi4EEEELi2ELNS_26BlockGemmPipelineSchedulerE0ELNS_24BlockGemmPipelineVersionE2EddLb0ELb0ELb0ELi0ELb0EEELb1ELNS_25InMemoryDataOperationEnumE0ELi2ELNS_10TailNumberE10EEEvNT_8ArgumentE,comdat
	.protected	_ZN2ck27kernel_gemm_xdl_cshuffle_v3INS_28GridwiseGemm_xdl_cshuffle_v3INS_13tensor_layout4gemm8RowMajorENS3_11ColumnMajorES4_dddddNS_16tensor_operation12element_wise11PassThroughES8_S8_LNS6_6device18GemmSpecializationE0ELi128ELi64ELi64ELi64ELi4ELi4ELi16ELi16ELi2ELi4ENS_8SequenceIJLi4ELi32ELi1EEEENSB_IJLi1ELi0ELi2EEEESD_Li2ELi2ELi2ELb0ELi0ESC_SD_SD_Li2ELi2ELi2ELb0ELi0ELi1ELi2ENSB_IJLi1ELi32ELi1ELi4EEEELi2ELNS_26BlockGemmPipelineSchedulerE0ELNS_24BlockGemmPipelineVersionE2EddLb0ELb0ELb0ELi0ELb0EEELb1ELNS_25InMemoryDataOperationEnumE0ELi2ELNS_10TailNumberE10EEEvNT_8ArgumentE ; -- Begin function _ZN2ck27kernel_gemm_xdl_cshuffle_v3INS_28GridwiseGemm_xdl_cshuffle_v3INS_13tensor_layout4gemm8RowMajorENS3_11ColumnMajorES4_dddddNS_16tensor_operation12element_wise11PassThroughES8_S8_LNS6_6device18GemmSpecializationE0ELi128ELi64ELi64ELi64ELi4ELi4ELi16ELi16ELi2ELi4ENS_8SequenceIJLi4ELi32ELi1EEEENSB_IJLi1ELi0ELi2EEEESD_Li2ELi2ELi2ELb0ELi0ESC_SD_SD_Li2ELi2ELi2ELb0ELi0ELi1ELi2ENSB_IJLi1ELi32ELi1ELi4EEEELi2ELNS_26BlockGemmPipelineSchedulerE0ELNS_24BlockGemmPipelineVersionE2EddLb0ELb0ELb0ELi0ELb0EEELb1ELNS_25InMemoryDataOperationEnumE0ELi2ELNS_10TailNumberE10EEEvNT_8ArgumentE
	.globl	_ZN2ck27kernel_gemm_xdl_cshuffle_v3INS_28GridwiseGemm_xdl_cshuffle_v3INS_13tensor_layout4gemm8RowMajorENS3_11ColumnMajorES4_dddddNS_16tensor_operation12element_wise11PassThroughES8_S8_LNS6_6device18GemmSpecializationE0ELi128ELi64ELi64ELi64ELi4ELi4ELi16ELi16ELi2ELi4ENS_8SequenceIJLi4ELi32ELi1EEEENSB_IJLi1ELi0ELi2EEEESD_Li2ELi2ELi2ELb0ELi0ESC_SD_SD_Li2ELi2ELi2ELb0ELi0ELi1ELi2ENSB_IJLi1ELi32ELi1ELi4EEEELi2ELNS_26BlockGemmPipelineSchedulerE0ELNS_24BlockGemmPipelineVersionE2EddLb0ELb0ELb0ELi0ELb0EEELb1ELNS_25InMemoryDataOperationEnumE0ELi2ELNS_10TailNumberE10EEEvNT_8ArgumentE
	.p2align	8
	.type	_ZN2ck27kernel_gemm_xdl_cshuffle_v3INS_28GridwiseGemm_xdl_cshuffle_v3INS_13tensor_layout4gemm8RowMajorENS3_11ColumnMajorES4_dddddNS_16tensor_operation12element_wise11PassThroughES8_S8_LNS6_6device18GemmSpecializationE0ELi128ELi64ELi64ELi64ELi4ELi4ELi16ELi16ELi2ELi4ENS_8SequenceIJLi4ELi32ELi1EEEENSB_IJLi1ELi0ELi2EEEESD_Li2ELi2ELi2ELb0ELi0ESC_SD_SD_Li2ELi2ELi2ELb0ELi0ELi1ELi2ENSB_IJLi1ELi32ELi1ELi4EEEELi2ELNS_26BlockGemmPipelineSchedulerE0ELNS_24BlockGemmPipelineVersionE2EddLb0ELb0ELb0ELi0ELb0EEELb1ELNS_25InMemoryDataOperationEnumE0ELi2ELNS_10TailNumberE10EEEvNT_8ArgumentE,@function
_ZN2ck27kernel_gemm_xdl_cshuffle_v3INS_28GridwiseGemm_xdl_cshuffle_v3INS_13tensor_layout4gemm8RowMajorENS3_11ColumnMajorES4_dddddNS_16tensor_operation12element_wise11PassThroughES8_S8_LNS6_6device18GemmSpecializationE0ELi128ELi64ELi64ELi64ELi4ELi4ELi16ELi16ELi2ELi4ENS_8SequenceIJLi4ELi32ELi1EEEENSB_IJLi1ELi0ELi2EEEESD_Li2ELi2ELi2ELb0ELi0ESC_SD_SD_Li2ELi2ELi2ELb0ELi0ELi1ELi2ENSB_IJLi1ELi32ELi1ELi4EEEELi2ELNS_26BlockGemmPipelineSchedulerE0ELNS_24BlockGemmPipelineVersionE2EddLb0ELb0ELb0ELi0ELb0EEELb1ELNS_25InMemoryDataOperationEnumE0ELi2ELNS_10TailNumberE10EEEvNT_8ArgumentE: ; @_ZN2ck27kernel_gemm_xdl_cshuffle_v3INS_28GridwiseGemm_xdl_cshuffle_v3INS_13tensor_layout4gemm8RowMajorENS3_11ColumnMajorES4_dddddNS_16tensor_operation12element_wise11PassThroughES8_S8_LNS6_6device18GemmSpecializationE0ELi128ELi64ELi64ELi64ELi4ELi4ELi16ELi16ELi2ELi4ENS_8SequenceIJLi4ELi32ELi1EEEENSB_IJLi1ELi0ELi2EEEESD_Li2ELi2ELi2ELb0ELi0ESC_SD_SD_Li2ELi2ELi2ELb0ELi0ELi1ELi2ENSB_IJLi1ELi32ELi1ELi4EEEELi2ELNS_26BlockGemmPipelineSchedulerE0ELNS_24BlockGemmPipelineVersionE2EddLb0ELb0ELb0ELi0ELb0EEELb1ELNS_25InMemoryDataOperationEnumE0ELi2ELNS_10TailNumberE10EEEvNT_8ArgumentE
; %bb.0:
	s_load_dwordx8 s[16:23], s[0:1], 0x10
	s_load_dword s12, s[0:1], 0x68
	s_load_dwordx2 s[8:9], s[0:1], 0x60
	s_load_dwordx4 s[4:7], s[0:1], 0x50
	v_mov_b32_e32 v198, v0
	s_waitcnt lgkmcnt(0)
	s_cmp_gt_i32 s22, 1
	s_cselect_b64 s[10:11], -1, 0
	s_bitcmp1_b32 s12, 0
	s_cselect_b64 s[12:13], -1, 0
	s_and_b64 s[10:11], s[10:11], s[12:13]
	s_andn2_b64 vcc, exec, s[10:11]
	s_mov_b64 s[10:11], 0
	s_cbranch_vccnz .LBB2_2
; %bb.1:
	s_mul_i32 s10, s16, s3
	s_mul_i32 s10, s10, s17
	s_ashr_i32 s11, s10, 31
.LBB2_2:
	s_load_dword s13, s[0:1], 0x34
	s_load_dword s23, s[0:1], 0x3c
	s_add_i32 s0, s16, -1
	s_cmp_lt_u32 s0, 64
	s_mov_b32 s12, 0
	s_cbranch_scc1 .LBB2_10
; %bb.3:
	s_add_i32 s0, s17, -1
	s_cmp_lt_u32 s0, 64
	s_mov_b32 s0, 0
	s_cbranch_scc1 .LBB2_9
; %bb.4:
	s_add_i32 s0, s16, 63
	s_ashr_i32 s1, s0, 31
	s_lshr_b32 s1, s1, 26
	s_add_i32 s0, s0, s1
	s_ashr_i32 s14, s0, 6
	s_add_i32 s0, s17, 63
	s_ashr_i32 s1, s0, 31
	s_lshr_b32 s1, s1, 26
	s_add_i32 s0, s0, s1
	s_ashr_i32 s12, s0, 6
	s_mul_i32 s0, s12, s14
	s_add_i32 s1, s0, 7
	s_ashr_i32 s15, s1, 31
	s_lshr_b32 s15, s15, 29
	s_add_i32 s1, s1, s15
	s_ashr_i32 s15, s1, 3
	s_and_b32 s1, s1, -8
	s_sub_i32 s24, s0, s1
	s_ashr_i32 s0, s2, 31
	s_lshr_b32 s0, s0, 29
	s_add_i32 s26, s2, s0
	s_and_b32 s0, s26, -8
	s_add_i32 s24, s24, 8
	s_sub_i32 s25, s2, s0
	s_cmp_gt_i32 s25, s24
	s_cbranch_scc1 .LBB2_6
; %bb.5:
	s_mul_i32 s2, s15, s25
	s_ashr_i32 s0, s26, 3
	s_cbranch_execz .LBB2_7
	s_branch .LBB2_8
.LBB2_6:
                                        ; implicit-def: $sgpr2
	s_ashr_i32 s0, s26, 3
.LBB2_7:
	s_add_i32 s1, s15, -1
	s_mul_i32 s1, s1, s25
	s_add_i32 s2, s24, s1
.LBB2_8:
	s_abs_i32 s1, s12
	v_cvt_f32_u32_e32 v0, s1
	s_sub_i32 s24, 0, s1
	s_add_i32 s0, s2, s0
	s_abs_i32 s15, s0
	v_rcp_iflag_f32_e32 v0, v0
	s_xor_b32 s2, s0, s12
	s_ashr_i32 s2, s2, 31
	v_mul_f32_e32 v0, 0x4f7ffffe, v0
	v_cvt_u32_f32_e32 v0, v0
	s_nop 0
	v_readfirstlane_b32 s25, v0
	s_mul_i32 s24, s24, s25
	s_mul_hi_u32 s24, s25, s24
	s_add_i32 s25, s25, s24
	s_mul_hi_u32 s24, s15, s25
	s_mul_i32 s25, s24, s1
	s_sub_i32 s15, s15, s25
	s_add_i32 s26, s24, 1
	s_sub_i32 s25, s15, s1
	s_cmp_ge_u32 s15, s1
	s_cselect_b32 s24, s26, s24
	s_cselect_b32 s15, s25, s15
	s_add_i32 s25, s24, 1
	s_cmp_ge_u32 s15, s1
	s_cselect_b32 s1, s25, s24
	s_xor_b32 s1, s1, s2
	s_lshr_b32 s15, s14, 30
	s_sub_i32 s1, s1, s2
	s_add_i32 s15, s14, s15
	s_mul_i32 s2, s1, s12
	s_sub_i32 s0, s0, s2
	s_and_b32 s2, s15, -4
	s_sub_i32 s14, s14, s2
	s_cmp_ge_i32 s1, s2
	s_cselect_b32 s2, s14, 4
	s_abs_i32 s15, s2
	v_cvt_f32_u32_e32 v0, s15
	s_ashr_i32 s14, s1, 31
	s_lshr_b32 s14, s14, 30
	s_add_i32 s14, s1, s14
	v_rcp_iflag_f32_e32 v0, v0
	s_and_b32 s14, s14, -4
	s_sub_i32 s14, s1, s14
	s_sub_i32 s25, 0, s15
	v_mul_f32_e32 v0, 0x4f7ffffe, v0
	v_cvt_u32_f32_e32 v0, v0
	s_mul_i32 s12, s14, s12
	s_add_i32 s12, s12, s0
	s_abs_i32 s24, s12
	v_readfirstlane_b32 s26, v0
	s_mul_i32 s25, s25, s26
	s_mul_hi_u32 s25, s26, s25
	s_add_i32 s26, s26, s25
	s_mul_hi_u32 s25, s24, s26
	s_mul_i32 s26, s25, s15
	s_xor_b32 s0, s12, s2
	s_sub_i32 s24, s24, s26
	s_ashr_i32 s0, s0, 31
	s_add_i32 s26, s25, 1
	s_sub_i32 s27, s24, s15
	s_cmp_ge_u32 s24, s15
	s_cselect_b32 s25, s26, s25
	s_cselect_b32 s24, s27, s24
	s_add_i32 s26, s25, 1
	s_cmp_ge_u32 s24, s15
	s_cselect_b32 s15, s26, s25
	s_xor_b32 s15, s15, s0
	s_sub_i32 s0, s15, s0
	s_mul_i32 s2, s0, s2
	s_sub_i32 s2, s12, s2
	s_add_i32 s2, s2, s1
	s_sub_i32 s2, s2, s14
.LBB2_9:
	s_mov_b32 s12, s2
	s_mov_b32 s2, s0
.LBB2_10:
	s_waitcnt lgkmcnt(0)
	s_mul_i32 s0, s13, s3
	s_ashr_i32 s1, s0, 31
	s_lshl_b64 s[14:15], s[0:1], 3
	s_add_u32 s0, s4, s14
	s_addc_u32 s1, s5, s15
	s_add_u32 s4, s6, s14
	s_addc_u32 s5, s7, s15
	s_add_u32 s14, 0, 0
	s_addc_u32 s15, s16, -1
	s_add_u32 s7, 0, 0
	s_addc_u32 s7, s17, 0x1fffffff
	s_add_i32 s22, s22, -1
	s_mul_i32 s24, s22, s13
	v_lshlrev_b32_e32 v0, 2, v198
	s_sub_i32 s18, s18, s24
	v_and_b32_e32 v153, 12, v0
	v_lshrrev_b32_e32 v0, 1, v198
	s_cmp_lt_u32 s3, s22
	v_and_b32_e32 v1, 62, v0
	v_and_b32_e32 v138, 14, v0
	s_cselect_b32 s18, s13, s18
	s_lshl_b32 s3, s12, 6
	s_lshl_b32 s13, s2, 6
	v_xor_b32_e32 v219, v138, v153
	v_lshlrev_b32_e32 v3, 6, v1
	v_add_u32_e32 v2, s3, v1
	v_lshl_or_b32 v139, v219, 2, v3
	v_add_u32_e32 v3, s13, v1
	v_lshlrev_b32_e32 v4, 2, v153
	v_mul_lo_u32 v2, v2, s19
	v_mul_lo_u32 v3, v3, s20
	v_add_u32_e32 v70, v2, v4
	v_add_u32_e32 v140, v3, v4
	v_and_b32_e32 v4, 63, v198
	v_and_b32_e32 v5, 48, v198
	v_sub_u32_e32 v9, v4, v5
	v_lshrrev_b32_e32 v4, 2, v198
	scratch_store_dword off, v4, off offset:776 ; 4-byte Folded Spill
	v_and_b32_e32 v4, 16, v4
	v_add_u32_e32 v141, v9, v4
	v_lshrrev_b16_e32 v4, 12, v141
	v_add_u16_e32 v4, v141, v4
	v_and_b32_e32 v4, -16, v4
	v_sub_u16_e32 v8, v141, v4
	v_lshrrev_b16_e32 v4, 11, v9
	v_and_b32_e32 v4, 15, v4
	v_add_u16_e32 v4, v9, v4
	s_ashr_i32 s2, s23, 31
	v_and_b32_e32 v4, 0xf0, v4
	s_lshr_b32 s2, s2, 28
	v_lshrrev_b32_e32 v7, 2, v5
	v_sub_u16_e32 v5, v9, v4
	s_add_i32 s23, s23, s2
	s_mul_i32 s6, s15, s19
	s_mul_i32 s7, s7, s20
	v_xor_b32_sdwa v6, v7, sext(v8) dst_sel:DWORD dst_unused:UNUSED_PAD src0_sel:DWORD src1_sel:WORD_0
	v_xor_b32_sdwa v4, v7, sext(v5) dst_sel:DWORD dst_unused:UNUSED_PAD src0_sel:DWORD src1_sel:BYTE_0
	s_ashr_i32 s23, s23, 4
	; sched_barrier mask(0x00000000)
	v_add_u32_e32 v62, 12, v70
	s_add_i32 s2, s18, s6
	v_add_lshl_u32 v71, v62, s19, 3
	s_lshl_b32 s2, s2, 3
	s_mov_b32 s3, 0x20000
	v_lshlrev_b32_e32 v142, 3, v70
	v_subrev_u32_e32 v18, 64, v71
	v_add_u32_e32 v30, 0xffffffb0, v71
	v_add_lshl_u32 v31, v70, s19, 3
	v_subrev_u32_e32 v50, 48, v71
	v_add_u32_e32 v72, 12, v140
	buffer_load_dwordx4 v[10:13], v142, s[0:3], 0 offen
	buffer_load_dwordx4 v[14:17], v142, s[0:3], 0 offen offset:16
	s_add_i32 s18, s18, s7
	buffer_load_dwordx4 v[18:21], v18, s[0:3], 0 offen
	s_nop 0
	buffer_load_dwordx4 v[22:25], v31, s[0:3], 0 offen
	buffer_load_dwordx4 v[26:29], v30, s[0:3], 0 offen
	s_nop 0
	buffer_load_dwordx4 v[30:33], v50, s[0:3], 0 offen
	buffer_load_dwordx4 v[34:37], v142, s[0:3], 0 offen offset:48
	buffer_load_dwordx4 v[38:41], v142, s[0:3], 0 offen offset:32
	;; [unrolled: 1-line block ×4, first 2 shown]
	v_subrev_u32_e32 v50, 32, v71
	v_add_u32_e32 v63, -16, v71
	v_lshlrev_b32_e32 v73, 3, v62
	v_or_b32_e32 v145, 1, v138
	v_or_b32_e32 v74, 1, v153
	v_add_u32_e32 v146, 0x4c, v70
	v_add_lshl_u32 v130, v72, s20, 3
	buffer_load_dwordx4 v[50:53], v50, s[0:3], 0 offen
	v_lshlrev_b32_e32 v143, 3, v140
	v_add_lshl_u32 v102, v140, s20, 3
	buffer_load_dwordx4 v[54:57], v71, s[0:3], 0 offen offset:16
	buffer_load_dwordx4 v[58:61], v63, s[0:3], 0 offen
	s_nop 0
	buffer_load_dwordx4 v[62:65], v73, s[0:3], 0 offen
	buffer_load_dwordx4 v[66:69], v71, s[0:3], 0 offen
	s_lshl_b32 s6, s18, 3
	s_mov_b32 s7, s3
	v_lshlrev_b32_e32 v122, 3, v72
	v_xor_b32_e32 v131, v145, v153
	v_xor_b32_e32 v148, v145, v74
	scratch_store_dword off, v74, off offset:652 ; 4-byte Folded Spill
	v_lshlrev_b32_e32 v150, 3, v146
	v_subrev_u32_e32 v90, 48, v130
	v_add_u32_e32 v91, 0xffffffb0, v130
	v_subrev_u32_e32 v103, 32, v130
	v_subrev_u32_e32 v104, 64, v130
	v_add_u32_e32 v134, -16, v130
	buffer_load_dwordx4 v[70:73], v142, s[0:3], 0 offen offset:112
	v_xor_b32_e32 v149, v74, v138
	buffer_load_dwordx4 v[74:77], v143, s[4:7], 0 offen
	buffer_load_dwordx4 v[78:81], v143, s[4:7], 0 offen offset:16
	buffer_load_dwordx4 v[82:85], v90, s[4:7], 0 offen
	buffer_load_dwordx4 v[86:89], v91, s[4:7], 0 offen
	s_nop 0
	buffer_load_dwordx4 v[90:93], v102, s[4:7], 0 offen
	buffer_load_dwordx4 v[94:97], v103, s[4:7], 0 offen
	;; [unrolled: 1-line block ×3, first 2 shown]
                                        ; kill: killed $vgpr104
                                        ; kill: killed $vgpr103
                                        ; kill: killed $vgpr102
	s_nop 0
	buffer_load_dwordx4 v[102:105], v143, s[4:7], 0 offen offset:32
	buffer_load_dwordx4 v[106:109], v143, s[4:7], 0 offen offset:48
	;; [unrolled: 1-line block ×5, first 2 shown]
	s_nop 0
	buffer_load_dwordx4 v[122:125], v122, s[4:7], 0 offen
	s_nop 0
	buffer_load_dwordx4 v[126:129], v130, s[4:7], 0 offen
	v_sub_u32_e32 v151, v131, v219
	v_sub_u32_e32 v152, v148, v131
	buffer_load_dwordx4 v[130:133], v130, s[4:7], 0 offen offset:16
	s_nop 0
	buffer_load_dwordx4 v[134:137], v134, s[4:7], 0 offen
	v_lshlrev_b32_e32 v144, 3, v139
	buffer_load_dwordx4 v[154:157], v150, s[0:3], 0 offen
	v_or_b32_e32 v147, 16, v144
	v_lshlrev_b32_e32 v150, 5, v151
	v_lshl_add_u32 v139, v151, 2, v139
	v_lshlrev_b32_e32 v151, 5, v152
	v_add_u32_e32 v147, v147, v150
	v_sub_u32_e32 v148, v149, v148
	v_lshl_add_u32 v139, v152, 2, v139
	v_add_u32_e32 v152, v147, v151
	v_lshl_add_u32 v139, v148, 2, v139
                                        ; kill: killed $vgpr142
                                        ; kill: killed $vgpr143
	s_mov_b32 s18, 0x8010
	s_mov_b32 s22, 0x8000
	s_waitcnt vmcnt(0)
	scratch_store_dwordx4 off, v[154:157], off offset:324 ; 16-byte Folded Spill
	ds_write_b128 v144, v[10:13]
	ds_write_b128 v144, v[14:17] offset:16
	ds_write_b128 v147, v[22:25] offset:496
	;; [unrolled: 1-line block ×5, first 2 shown]
	v_or_b32_e32 v16, 2, v153
	v_lshlrev_b32_e32 v10, 5, v148
	v_xor_b32_e32 v13, v16, v138
	v_add_u32_e32 v11, v152, v10
	v_sub_u32_e32 v14, v13, v149
	v_add_u32_e32 v12, -16, v11
	v_lshlrev_b32_e32 v15, 5, v14
	ds_write_b128 v12, v[38:41]
	v_add_u32_e32 v12, v12, v15
	v_or_b32_e32 v19, 3, v153
	ds_write_b128 v11, v[34:37]
	ds_write_b128 v12, v[42:45]
	v_lshl_add_u32 v12, v14, 2, v139
	v_xor_b32_e32 v14, v16, v145
	v_xor_b32_e32 v17, v145, v19
	v_sub_u32_e32 v13, v14, v13
	v_sub_u32_e32 v14, v17, v14
	v_add_u32_e32 v11, v11, v15
	scratch_store_dword off, v16, off offset:656 ; 4-byte Folded Spill
	v_lshlrev_b32_e32 v16, 2, v13
	v_lshlrev_b32_e32 v18, 2, v14
	v_lshlrev_b32_e32 v13, 5, v13
	ds_write_b128 v11, v[46:49]
	v_add3_u32 v12, v16, v12, v18
	v_add_u32_e32 v11, v11, v13
	v_lshlrev_b32_e32 v14, 5, v14
	v_xor_b32_e32 v16, v19, v138
	scratch_store_dword off, v153, off offset:304 ; 4-byte Folded Spill
	ds_write_b128 v11, v[58:61] offset:512
	ds_write_b128 v11, v[50:53] offset:496
	v_add_u32_e32 v11, v11, v14
	v_sub_u32_e32 v17, v16, v17
	v_sub_u32_e32 v16, v219, v16
	ds_write_b128 v11, v[66:69] offset:496
	ds_write_b128 v11, v[54:57] offset:512
	scratch_store_dword off, v19, off offset:660 ; 4-byte Folded Spill
	v_lshlrev_b32_e32 v18, 2, v17
	v_lshlrev_b32_e32 v16, 2, v16
	v_add3_u32 v233, v12, v18, v16
	v_lshlrev_b32_e32 v12, 5, v17
	buffer_load_dwordx4 v[16:19], v142, s[0:3], 0 offen offset:512
	v_add_u32_e32 v11, v11, v12
	ds_write_b128 v11, v[70:73]
	v_add_u32_e32 v11, -16, v11
	s_waitcnt vmcnt(0)
	scratch_store_dwordx4 off, v[16:19], off offset:564 ; 16-byte Folded Spill
	ds_write_b128 v11, v[62:65]
	ds_write_b128 v144, v[74:77] offset:32768
	v_or_b32_e32 v11, 0x8010, v144
	v_add_u32_e32 v11, v11, v150
	ds_write_b128 v144, v[78:81] offset:32784
	ds_write_b128 v11, v[86:89] offset:512
	v_add_u32_e32 v16, 0x4c, v140
	ds_write_b128 v11, v[90:93] offset:496
	v_add_u32_e32 v11, v11, v151
	v_lshlrev_b32_e32 v17, 3, v16
	v_add_u32_e32 v10, v11, v10
	buffer_load_dwordx4 v[234:237], v17, s[4:7], 0 offen
	ds_write_b128 v11, v[98:101] offset:496
	ds_write_b128 v11, v[82:85] offset:512
	v_add_u32_e32 v11, -16, v10
	ds_write_b128 v10, v[106:109]
	ds_write_b128 v11, v[102:105]
	v_add_u32_e32 v11, v11, v15
	v_add_u32_e32 v10, v10, v15
	ds_write_b128 v11, v[110:113]
	ds_write_b128 v10, v[114:117]
	v_add_u32_e32 v10, v10, v13
	ds_write_b128 v10, v[134:137] offset:512
	ds_write_b128 v10, v[94:97] offset:496
	v_add_u32_e32 v10, v10, v14
	ds_write_b128 v10, v[126:129] offset:496
	ds_write_b128 v10, v[130:133] offset:512
	v_add_u32_e32 v10, v10, v12
	buffer_load_dwordx4 v[12:15], v143, s[4:7], 0 offen offset:512
	ds_write_b128 v10, v[118:121]
	v_add_u32_e32 v10, -16, v10
	ds_write_b128 v10, v[122:125]
	v_and_b32_e32 v17, 15, v198
	s_waitcnt vmcnt(0)
	scratch_store_dwordx4 off, v[12:15], off offset:308 ; 16-byte Folded Spill
	buffer_load_dwordx4 v[70:73], v142, s[0:3], 0 offen offset:528
	buffer_load_dwordx4 v[250:253], v142, s[0:3], 0 offen offset:544
	;; [unrolled: 1-line block ×3, first 2 shown]
	s_nop 0
	buffer_load_dwordx4 v[10:13], v142, s[0:3], 0 offen offset:576
	s_waitcnt vmcnt(0)
	scratch_store_dwordx4 off, v[10:13], off offset:420 ; 16-byte Folded Spill
	buffer_load_dwordx4 v[10:13], v142, s[0:3], 0 offen offset:592
	s_waitcnt vmcnt(0)
	scratch_store_dwordx4 off, v[10:13], off offset:436 ; 16-byte Folded Spill
	;; [unrolled: 3-line block ×3, first 2 shown]
	s_nop 1
	v_add_lshl_u32 v10, v146, s19, 3
	buffer_load_dwordx4 v[12:15], v10, s[0:3], 0 offen
	v_add_u32_e32 v11, -16, v10
                                        ; kill: killed $vgpr11
	s_waitcnt vmcnt(0)
	scratch_store_dwordx4 off, v[12:15], off offset:452 ; 16-byte Folded Spill
	buffer_load_dwordx4 v[12:15], v10, s[0:3], 0 offen offset:16
	s_waitcnt vmcnt(0)
	scratch_store_dwordx4 off, v[12:15], off offset:468 ; 16-byte Folded Spill
	buffer_load_dwordx4 v[18:21], v11, s[0:3], 0 offen
	s_nop 0
	v_subrev_u32_e32 v12, 32, v10
	v_subrev_u32_e32 v11, 64, v10
                                        ; kill: killed $vgpr12
                                        ; kill: killed $vgpr11
	s_waitcnt vmcnt(0)
	scratch_store_dwordx4 off, v[18:21], off offset:484 ; 16-byte Folded Spill
	buffer_load_dwordx4 v[18:21], v12, s[0:3], 0 offen
	v_subrev_u32_e32 v12, 48, v10
                                        ; kill: killed $vgpr12
	s_waitcnt vmcnt(0)
	scratch_store_dwordx4 off, v[18:21], off offset:500 ; 16-byte Folded Spill
	buffer_load_dwordx4 v[18:21], v11, s[0:3], 0 offen
	v_add_u32_e32 v11, 0xffffffb0, v10
	v_add_u32_e32 v10, 0xffffffa0, v10
                                        ; kill: killed $vgpr10
                                        ; kill: killed $vgpr11
	s_waitcnt vmcnt(0)
	scratch_store_dwordx4 off, v[18:21], off offset:516 ; 16-byte Folded Spill
	buffer_load_dwordx4 v[18:21], v12, s[0:3], 0 offen
	s_waitcnt vmcnt(0)
	scratch_store_dwordx4 off, v[18:21], off offset:548 ; 16-byte Folded Spill
	buffer_load_dwordx4 v[12:15], v11, s[0:3], 0 offen
	;; [unrolled: 3-line block ×3, first 2 shown]
	s_nop 0
	buffer_load_dwordx4 v[12:15], v143, s[4:7], 0 offen offset:528
	v_add_lshl_u32 v10, v16, s20, 3
	v_add_u32_e32 v11, -16, v10
	s_waitcnt vmcnt(0)
	scratch_store_dwordx4 off, v[12:15], off offset:356 ; 16-byte Folded Spill
	buffer_load_dwordx4 v[12:15], v143, s[4:7], 0 offen offset:544
	s_waitcnt vmcnt(0)
	scratch_store_dwordx4 off, v[12:15], off offset:340 ; 16-byte Folded Spill
	buffer_load_dwordx4 v[12:15], v143, s[4:7], 0 offen offset:560
	;; [unrolled: 3-line block ×5, first 2 shown]
	buffer_load_dwordx4 v[214:217], v10, s[4:7], 0 offen
	buffer_load_dwordx4 v[90:93], v10, s[4:7], 0 offen offset:16
	v_subrev_u32_e32 v12, 32, v10
	buffer_load_dwordx4 v[202:205], v11, s[4:7], 0 offen
	buffer_load_dwordx4 v[78:81], v12, s[4:7], 0 offen
	v_subrev_u32_e32 v11, 64, v10
	v_subrev_u32_e32 v12, 48, v10
	buffer_load_dwordx4 v[98:101], v11, s[4:7], 0 offen
	buffer_load_dwordx4 v[106:109], v12, s[4:7], 0 offen
	v_add_u32_e32 v11, 0xffffffb0, v10
	v_add_u32_e32 v10, 0xffffffa0, v10
	buffer_load_dwordx4 v[102:105], v11, s[4:7], 0 offen
	buffer_load_dwordx4 v[238:241], v10, s[4:7], 0 offen
	v_add_u16_e32 v10, 32, v141
	v_ashrrev_i16_e32 v12, 15, v10
	v_add_u16_e32 v14, 16, v9
	v_mov_b32_e32 v15, 11
	v_lshrrev_b16_e32 v12, 12, v12
	v_lshrrev_b16_sdwa v16, v15, sext(v14) dst_sel:DWORD dst_unused:UNUSED_PAD src0_sel:DWORD src1_sel:BYTE_0
	v_add_u16_e32 v12, v10, v12
	v_and_b32_e32 v16, 15, v16
	v_and_b32_e32 v12, -16, v12
	v_add_u16_e32 v16, v14, v16
	v_sub_u16_e32 v12, v10, v12
	v_and_b32_e32 v16, 0xf0, v16
	v_xor_b32_sdwa v10, v7, sext(v12) dst_sel:DWORD dst_unused:UNUSED_PAD src0_sel:DWORD src1_sel:WORD_0
	v_sub_u16_e32 v14, v14, v16
	v_lshlrev_b32_e32 v11, 9, v141
	v_sub_u32_e32 v10, v10, v6
	v_lshlrev_b32_e32 v13, 9, v9
	v_xor_b32_sdwa v16, v7, sext(v14) dst_sel:DWORD dst_unused:UNUSED_PAD src0_sel:DWORD src1_sel:BYTE_0
	v_add_u16_e32 v9, 32, v9
	v_lshl_add_u32 v18, v6, 5, v11
	v_lshlrev_b32_e32 v10, 5, v10
	v_lshl_add_u32 v25, v4, 5, v13
	v_sub_u32_e32 v16, v16, v4
	v_lshrrev_b16_sdwa v15, v15, sext(v9) dst_sel:DWORD dst_unused:UNUSED_PAD src0_sel:DWORD src1_sel:BYTE_0
	v_add_u32_e32 v19, v18, v10
	v_add_u32_e32 v10, 0x8000, v25
	v_lshlrev_b32_e32 v16, 5, v16
	v_and_b32_e32 v15, 15, v15
	s_waitcnt lgkmcnt(0)
	s_barrier
	scratch_store_dword off, v16, off offset:672 ; 4-byte Folded Spill
	v_add_u32_e32 v16, v10, v16
	v_add_u16_e32 v15, v9, v15
	ds_read_b128 v[118:121], v16 offset:8192
	ds_read_b128 v[20:23], v16 offset:8208
	v_and_b32_e32 v15, 0xf0, v15
	v_sub_u16_e32 v9, v9, v15
	v_xor_b32_sdwa v15, v7, sext(v9) dst_sel:DWORD dst_unused:UNUSED_PAD src0_sel:DWORD src1_sel:BYTE_0
	v_sub_u32_e32 v15, v15, v4
	v_lshlrev_b32_e32 v15, 5, v15
	s_waitcnt lgkmcnt(0)
	scratch_store_dwordx4 off, v[20:23], off ; 16-byte Folded Spill
	scratch_store_dword off, v15, off offset:676 ; 4-byte Folded Spill
	v_add_u32_e32 v15, v10, v15
	ds_read_b128 v[130:133], v15 offset:16384
	ds_read_b128 v[20:23], v15 offset:16400
	v_xor_b32_e32 v15, v7, v17
	v_sub_u32_e32 v15, v15, v4
	v_lshlrev_b32_e32 v15, 5, v15
	scratch_store_dword off, v15, off offset:680 ; 4-byte Folded Spill
	s_waitcnt lgkmcnt(0)
	scratch_store_dwordx4 off, v[20:23], off offset:32 ; 16-byte Folded Spill
	v_add_u32_e32 v15, v10, v15
	ds_read_b128 v[134:137], v15 offset:24576
	ds_read_b128 v[126:129], v15 offset:24592
	v_or_b32_e32 v15, 1, v7
	v_xor_b32_sdwa v16, v15, sext(v8) dst_sel:DWORD dst_unused:UNUSED_PAD src0_sel:DWORD src1_sel:WORD_0
	v_lshl_add_u32 v20, v16, 5, v11
	v_xor_b32_sdwa v16, v15, sext(v12) dst_sel:DWORD dst_unused:UNUSED_PAD src0_sel:DWORD src1_sel:WORD_0
	v_sub_u32_e32 v16, v16, v6
	v_lshlrev_b32_e32 v16, 5, v16
	v_add_u32_e32 v21, v18, v16
	v_xor_b32_sdwa v16, v15, sext(v5) dst_sel:DWORD dst_unused:UNUSED_PAD src0_sel:DWORD src1_sel:BYTE_0
	v_lshl_add_u32 v22, v16, 5, v13
	v_xor_b32_sdwa v16, v15, sext(v14) dst_sel:DWORD dst_unused:UNUSED_PAD src0_sel:DWORD src1_sel:BYTE_0
	v_sub_u32_e32 v16, v16, v4
	v_lshlrev_b32_e32 v16, 5, v16
	scratch_store_dword off, v16, off offset:696 ; 4-byte Folded Spill
	v_add_u32_e32 v16, v10, v16
	ds_read_b128 v[26:29], v16 offset:8192
	ds_read_b128 v[210:213], v16 offset:8208
	v_xor_b32_sdwa v16, v15, sext(v9) dst_sel:DWORD dst_unused:UNUSED_PAD src0_sel:DWORD src1_sel:BYTE_0
	v_sub_u32_e32 v16, v16, v4
	v_lshlrev_b32_e32 v16, 5, v16
	scratch_store_dword off, v16, off offset:700 ; 4-byte Folded Spill
	v_add_u32_e32 v16, v10, v16
	s_waitcnt lgkmcnt(1)
	scratch_store_dwordx4 off, v[26:29], off offset:112 ; 16-byte Folded Spill
	ds_read_b128 v[26:29], v16 offset:16384
	v_xor_b32_e32 v15, v15, v17
	v_sub_u32_e32 v15, v15, v4
	v_lshlrev_b32_e32 v15, 5, v15
	scratch_store_dword off, v15, off offset:704 ; 4-byte Folded Spill
	s_waitcnt lgkmcnt(0)
	scratch_store_dwordx4 off, v[26:29], off offset:208 ; 16-byte Folded Spill
	ds_read_b128 v[26:29], v16 offset:16400
	v_add_u32_e32 v15, v10, v15
	s_waitcnt lgkmcnt(0)
	scratch_store_dwordx4 off, v[26:29], off offset:128 ; 16-byte Folded Spill
	ds_read_b128 v[26:29], v15 offset:24576
	s_waitcnt lgkmcnt(0)
	scratch_store_dwordx4 off, v[26:29], off offset:176 ; 16-byte Folded Spill
	ds_read_b128 v[26:29], v15 offset:24592
	v_or_b32_e32 v15, 2, v7
	v_xor_b32_sdwa v16, v15, sext(v8) dst_sel:DWORD dst_unused:UNUSED_PAD src0_sel:DWORD src1_sel:WORD_0
	v_lshl_add_u32 v23, v16, 5, v11
	v_xor_b32_sdwa v16, v15, sext(v12) dst_sel:DWORD dst_unused:UNUSED_PAD src0_sel:DWORD src1_sel:WORD_0
	v_sub_u32_e32 v16, v16, v6
	v_lshlrev_b32_e32 v16, 5, v16
	v_add_u32_e32 v24, v18, v16
	v_xor_b32_sdwa v16, v15, sext(v5) dst_sel:DWORD dst_unused:UNUSED_PAD src0_sel:DWORD src1_sel:BYTE_0
	s_waitcnt lgkmcnt(0)
	scratch_store_dwordx4 off, v[26:29], off offset:96 ; 16-byte Folded Spill
	v_or_b32_e32 v7, 3, v7
	v_xor_b32_sdwa v8, v7, sext(v8) dst_sel:DWORD dst_unused:UNUSED_PAD src0_sel:DWORD src1_sel:WORD_0
	v_lshl_add_u32 v26, v16, 5, v13
	v_xor_b32_sdwa v16, v15, sext(v14) dst_sel:DWORD dst_unused:UNUSED_PAD src0_sel:DWORD src1_sel:BYTE_0
	v_sub_u32_e32 v16, v16, v4
	v_lshlrev_b32_e32 v16, 5, v16
	scratch_store_dword off, v16, off offset:724 ; 4-byte Folded Spill
	v_add_u32_e32 v16, v10, v16
	ds_read_b128 v[28:31], v16 offset:8192
	ds_read_b128 v[242:245], v16 offset:8208
	v_xor_b32_sdwa v16, v15, sext(v9) dst_sel:DWORD dst_unused:UNUSED_PAD src0_sel:DWORD src1_sel:BYTE_0
	v_sub_u32_e32 v16, v16, v4
	v_lshlrev_b32_e32 v16, 5, v16
	scratch_store_dword off, v16, off offset:728 ; 4-byte Folded Spill
	v_add_u32_e32 v16, v10, v16
	s_waitcnt lgkmcnt(1)
	scratch_store_dwordx4 off, v[28:31], off offset:64 ; 16-byte Folded Spill
	ds_read_b128 v[28:31], v16 offset:16384
	v_xor_b32_e32 v15, v15, v17
	v_sub_u32_e32 v15, v15, v4
	v_lshlrev_b32_e32 v15, 5, v15
	scratch_store_dword off, v15, off offset:732 ; 4-byte Folded Spill
	s_waitcnt lgkmcnt(0)
	scratch_store_dwordx4 off, v[28:31], off offset:192 ; 16-byte Folded Spill
	ds_read_b128 v[28:31], v16 offset:16400
	v_add_u32_e32 v15, v10, v15
	v_lshl_add_u32 v11, v8, 5, v11
	v_xor_b32_sdwa v8, v7, sext(v12) dst_sel:DWORD dst_unused:UNUSED_PAD src0_sel:DWORD src1_sel:WORD_0
	v_xor_b32_sdwa v5, v7, sext(v5) dst_sel:DWORD dst_unused:UNUSED_PAD src0_sel:DWORD src1_sel:BYTE_0
	s_waitcnt lgkmcnt(0)
	scratch_store_dwordx4 off, v[28:31], off offset:80 ; 16-byte Folded Spill
	ds_read_b128 v[28:31], v15 offset:24576
	v_sub_u32_e32 v6, v8, v6
	v_lshl_add_u32 v8, v5, 5, v13
	v_xor_b32_sdwa v5, v7, sext(v14) dst_sel:DWORD dst_unused:UNUSED_PAD src0_sel:DWORD src1_sel:BYTE_0
	v_sub_u32_e32 v5, v5, v4
	s_waitcnt lgkmcnt(0)
	scratch_store_dwordx4 off, v[28:31], off offset:160 ; 16-byte Folded Spill
	ds_read_b128 v[28:31], v15 offset:24592
	v_lshlrev_b32_e32 v5, 5, v5
	scratch_store_dword off, v5, off offset:748 ; 4-byte Folded Spill
	v_add_u32_e32 v5, v10, v5
	v_lshlrev_b32_e32 v6, 5, v6
	s_waitcnt lgkmcnt(0)
	scratch_store_dwordx4 off, v[28:31], off offset:48 ; 16-byte Folded Spill
	ds_read_b128 v[142:145], v5 offset:8192
	ds_read_b128 v[138:141], v5 offset:8208
	v_xor_b32_sdwa v5, v7, sext(v9) dst_sel:DWORD dst_unused:UNUSED_PAD src0_sel:DWORD src1_sel:BYTE_0
	v_sub_u32_e32 v5, v5, v4
	v_lshlrev_b32_e32 v5, 5, v5
	scratch_store_dword off, v5, off offset:752 ; 4-byte Folded Spill
	v_add_u32_e32 v5, v10, v5
	ds_read_b128 v[12:15], v5 offset:16384
	v_add_u32_e32 v6, v18, v6
	s_waitcnt lgkmcnt(0)
	scratch_store_dwordx4 off, v[12:15], off offset:224 ; 16-byte Folded Spill
	ds_read_b128 v[12:15], v5 offset:16400
	v_xor_b32_e32 v5, v7, v17
	v_sub_u32_e32 v4, v5, v4
	v_lshlrev_b32_e32 v4, 5, v4
	s_waitcnt lgkmcnt(0)
	scratch_store_dwordx4 off, v[12:15], off offset:16 ; 16-byte Folded Spill
	scratch_store_dword off, v17, off offset:780 ; 4-byte Folded Spill
	scratch_store_dword off, v4, off offset:756 ; 4-byte Folded Spill
	v_add_u32_e32 v4, v10, v4
	ds_read_b128 v[12:15], v4 offset:24576
	s_waitcnt lgkmcnt(0)
	scratch_store_dwordx4 off, v[12:15], off offset:144 ; 16-byte Folded Spill
	ds_read_b128 v[158:161], v4 offset:24592
	ds_read_b128 v[74:77], v18
	scratch_store_dword off, v18, off offset:664 ; 4-byte Folded Spill
	ds_read_b128 v[66:69], v18 offset:16
	ds_read_b128 v[246:249], v19 offset:16384
	scratch_store_dword off, v19, off offset:668 ; 4-byte Folded Spill
	ds_read_b128 v[220:223], v19 offset:16400
	ds_read_b128 v[186:189], v25 offset:32768
	scratch_store_dword off, v25, off offset:716 ; 4-byte Folded Spill
	ds_read_b128 v[122:125], v25 offset:32784
	ds_read_b128 v[194:197], v20
	scratch_store_dword off, v20, off offset:684 ; 4-byte Folded Spill
	ds_read_b128 v[190:193], v20 offset:16
	ds_read_b128 v[178:181], v21 offset:16384
	scratch_store_dword off, v21, off offset:688 ; 4-byte Folded Spill
	ds_read_b128 v[174:177], v21 offset:16400
	ds_read_b128 v[12:15], v22 offset:32768
	s_waitcnt lgkmcnt(0)
	scratch_store_dwordx4 off, v[12:15], off offset:288 ; 16-byte Folded Spill
	scratch_store_dword off, v22, off offset:692 ; 4-byte Folded Spill
	ds_read_b128 v[12:15], v22 offset:32784
	ds_read_b128 v[170:173], v23
	scratch_store_dword off, v23, off offset:708 ; 4-byte Folded Spill
	s_waitcnt lgkmcnt(1)
	scratch_store_dwordx4 off, v[12:15], off offset:272 ; 16-byte Folded Spill
	ds_read_b128 v[166:169], v23 offset:16
	ds_read_b128 v[154:157], v24 offset:16384
	scratch_store_dword off, v24, off offset:712 ; 4-byte Folded Spill
	ds_read_b128 v[150:153], v24 offset:16400
	ds_read_b128 v[12:15], v26 offset:32768
	s_waitcnt lgkmcnt(0)
	scratch_store_dwordx4 off, v[12:15], off offset:256 ; 16-byte Folded Spill
	scratch_store_dword off, v26, off offset:720 ; 4-byte Folded Spill
	ds_read_b128 v[12:15], v26 offset:32784
	ds_read_b128 v[110:113], v11
	scratch_store_dword off, v11, off offset:736 ; 4-byte Folded Spill
	s_waitcnt lgkmcnt(1)
	scratch_store_dwordx4 off, v[12:15], off offset:240 ; 16-byte Folded Spill
	ds_read_b128 v[82:85], v11 offset:16
	ds_read_b128 v[86:89], v6 offset:16384
	scratch_store_dword off, v6, off offset:740 ; 4-byte Folded Spill
	ds_read_b128 v[226:229], v6 offset:16400
	ds_read_b128 v[182:185], v8 offset:32768
	;; [unrolled: 1-line block ×3, first 2 shown]
	scratch_store_dword off, v8, off offset:744 ; 4-byte Folded Spill
	; sched_barrier mask(0x00000000)
	v_or_b32_e32 v0, 1, v0
	v_sub_u32_e32 v4, v0, v1
	v_lshlrev_b32_e32 v1, 6, v4
	scratch_store_dword off, v1, off offset:760 ; 4-byte Folded Spill
	scratch_store_dword off, v198, off offset:772 ; 4-byte Folded Spill
	v_and_b32_e32 v1, 3, v198
	v_lshlrev_b32_e32 v1, 7, v1
	scratch_store_dword off, v1, off offset:764 ; 4-byte Folded Spill
	v_add_lshl_u32 v255, v3, s20, 3
	v_lshlrev_b32_e32 v1, 3, v3
	v_add_u32_e32 v3, -1, v4
	s_add_i32 s23, s23, -1
	scratch_store_dword off, v3, off offset:768 ; 4-byte Folded Spill
	v_add_lshl_u32 v254, v2, s19, 3
	v_lshlrev_b32_e32 v232, 3, v2
	v_mov_b64_e32 v[2:3], 0
	s_max_i32 s23, s23, 1
	v_mov_b32_e32 v200, v233
	v_mov_b64_e32 v[4:5], v[2:3]
	v_mov_b64_e32 v[6:7], v[2:3]
	;; [unrolled: 1-line block ×31, first 2 shown]
.LBB2_11:                               ; =>This Inner Loop Header: Depth=1
	scratch_store_dwordx4 off, v[234:237], off offset:636 ; 16-byte Folded Spill
	s_waitcnt lgkmcnt(0)
	s_barrier
	scratch_load_dwordx4 v[162:165], off, off offset:564 ; 16-byte Folded Reload
	v_mfma_f64_16x16x4_f64 v[58:65], v[74:75], v[186:187], v[58:65]
	; sched_group_barrier mask(0x00000020) size(1) SyncID(0)
	v_lshlrev_b32_e32 v199, 3, v200
	ds_write_b128 v199, v[70:73] offset:16
	v_ashrrev_i32_e32 v201, 31, v0
	v_lshrrev_b32_e32 v201, 28, v201
	s_waitcnt vmcnt(56)
	v_mov_b64_e32 v[70:71], v[90:91]
	v_add_u32_e32 v201, v0, v201
	v_mov_b64_e32 v[72:73], v[92:93]
	s_waitcnt vmcnt(54)
	v_mov_b64_e32 v[92:93], v[80:81]
	v_and_b32_e32 v201, -16, v201
	v_mov_b64_e32 v[90:91], v[78:79]
	v_mov_b64_e32 v[78:79], v[202:203]
	;; [unrolled: 1-line block ×3, first 2 shown]
	v_sub_u32_e32 v202, v0, v201
	v_mov_b64_e32 v[236:237], v[212:213]
	v_mov_b64_e32 v[234:235], v[210:211]
	v_mfma_f64_16x16x4_f64 v[58:65], v[76:77], v[188:189], v[58:65]
	v_mfma_f64_16x16x4_f64 v[58:65], v[66:67], v[122:123], v[58:65]
	; sched_group_barrier mask(0x00000008) size(3) SyncID(0)
	s_waitcnt vmcnt(0)
	ds_write_b128 v199, v[162:165]
	scratch_load_dword v162, off, off offset:304 ; 4-byte Folded Reload
	v_mfma_f64_16x16x4_f64 v[50:57], v[74:75], v[118:119], v[50:57]
	v_mfma_f64_16x16x4_f64 v[58:65], v[68:69], v[124:125], v[58:65]
	; sched_group_barrier mask(0x00000020) size(1) SyncID(0)
	v_mfma_f64_16x16x4_f64 v[50:57], v[76:77], v[120:121], v[50:57]
	; sched_group_barrier mask(0x00000008) size(3) SyncID(0)
	s_waitcnt vmcnt(0)
	v_xor_b32_e32 v201, v202, v162
	scratch_load_dword v162, off, off offset:760 ; 4-byte Folded Reload
	v_mfma_f64_16x16x4_f64 v[42:49], v[74:75], v[130:131], v[42:49]
	v_mfma_f64_16x16x4_f64 v[34:41], v[74:75], v[134:135], v[34:41]
	v_sub_u32_e32 v203, v201, v219
	; sched_group_barrier mask(0x00000020) size(1) SyncID(0)
	v_mfma_f64_16x16x4_f64 v[42:49], v[76:77], v[132:133], v[42:49]
	scratch_load_dwordx4 v[210:213], off, off offset:532 ; 16-byte Folded Reload
	v_mfma_f64_16x16x4_f64 v[34:41], v[76:77], v[136:137], v[34:41]
	v_mfma_f64_16x16x4_f64 v[18:25], v[246:247], v[186:187], v[18:25]
	; sched_group_barrier mask(0x00000008) size(3) SyncID(0)
	; sched_group_barrier mask(0x00000020) size(1) SyncID(0)
	v_mfma_f64_16x16x4_f64 v[34:41], v[66:67], v[126:127], v[34:41]
	; sched_group_barrier mask(0x00000008) size(3) SyncID(0)
	s_waitcnt vmcnt(1)
	v_lshl_add_u32 v203, v203, 2, v162
	v_lshlrev_b32_e32 v204, 3, v203
	v_add_u32_e32 v199, v199, v204
	ds_write_b128 v199, v[114:117]
	v_mov_b64_e32 v[114:115], v[206:207]
	v_mov_b64_e32 v[116:117], v[208:209]
	scratch_load_dword v209, off, off offset:652 ; 4-byte Folded Reload
	v_mfma_f64_16x16x4_f64 v[18:25], v[248:249], v[188:189], v[18:25]
	v_mfma_f64_16x16x4_f64 v[34:41], v[68:69], v[128:129], v[34:41]
	v_not_b32_e32 v162, 63
	s_waitcnt vmcnt(1)
	ds_write_b128 v199, v[210:213] offset:16
	; sched_group_barrier mask(0x00000020) size(1) SyncID(0)
	v_mfma_f64_16x16x4_f64 v[18:25], v[220:221], v[122:123], v[18:25]
	scratch_load_dwordx4 v[210:213], off, off offset:516 ; 16-byte Folded Reload
	v_mfma_f64_16x16x4_f64 v[26:33], v[246:247], v[130:131], v[26:33]
	; sched_group_barrier mask(0x00000008) size(3) SyncID(0)
	; sched_group_barrier mask(0x00000020) size(1) SyncID(0)
	v_mfma_f64_16x16x4_f64 v[18:25], v[222:223], v[124:125], v[18:25]
	scratch_load_dwordx4 v[122:125], off, off offset:176 ; 16-byte Folded Reload
	v_mfma_f64_16x16x4_f64 v[26:33], v[248:249], v[132:133], v[26:33]
	scratch_load_dwordx4 v[130:133], off, off offset:272 ; 16-byte Folded Reload
	; sched_group_barrier mask(0x00000008) size(3) SyncID(0)
	s_waitcnt vmcnt(3)
	v_xor_b32_e32 v205, v202, v209
	v_sub_u32_e32 v206, v205, v201
	v_lshlrev_b32_e32 v207, 5, v206
	v_add_u32_e32 v199, v199, v207
	v_add_u32_e32 v201, -1, v0
	v_ashrrev_i32_e32 v208, 31, v201
	v_lshrrev_b32_e32 v208, 28, v208
	v_add_u32_e32 v208, v201, v208
	v_and_b32_e32 v208, -16, v208
	v_sub_u32_e32 v231, v201, v208
	s_waitcnt vmcnt(2)
	ds_write_b128 v199, v[210:213]
	scratch_load_dwordx4 v[210:213], off, off offset:548 ; 16-byte Folded Reload
	v_mfma_f64_16x16x4_f64 v[2:9], v[246:247], v[134:135], v[2:9]
	v_xor_b32_e32 v208, v231, v209
	v_sub_u32_e32 v205, v208, v205
	v_lshl_add_u32 v205, v205, 2, v162
	v_lshlrev_b32_e32 v209, 3, v205
	v_lshlrev_b32_e32 v206, 2, v206
	; sched_group_barrier mask(0x00000020) size(1) SyncID(0)
	v_mfma_f64_16x16x4_f64 v[2:9], v[248:249], v[136:137], v[2:9]
	scratch_load_dwordx4 v[134:137], off, off offset:288 ; 16-byte Folded Reload
	v_mfma_f64_16x16x4_f64 v[2:9], v[220:221], v[126:127], v[2:9]
	; sched_group_barrier mask(0x00000008) size(3) SyncID(0)
	s_waitcnt vmcnt(1)
	ds_write_b128 v199, v[210:213] offset:16
	scratch_load_dword v213, off, off offset:656 ; 4-byte Folded Reload
	v_add_u32_e32 v210, v199, v209
	v_add_u32_e32 v199, 16, v199
	;; [unrolled: 1-line block ×3, first 2 shown]
	ds_write_b128 v199, v[94:97]
	v_mfma_f64_16x16x4_f64 v[2:9], v[222:223], v[128:129], v[2:9]
	ds_write_b128 v210, v[250:253]
	scratch_load_dwordx4 v[126:129], off, off offset:208 ; 16-byte Folded Reload
	; sched_group_barrier mask(0x00000020) size(1) SyncID(0)
	s_waitcnt vmcnt(2)
	v_mfma_f64_16x16x4_f64 v[58:65], v[194:195], v[134:135], v[58:65]
	v_mfma_f64_16x16x4_f64 v[58:65], v[196:197], v[136:137], v[58:65]
	scratch_load_dwordx4 v[94:97], off, off offset:420 ; 16-byte Folded Reload
	v_mfma_f64_16x16x4_f64 v[34:41], v[194:195], v[122:123], v[34:41]
	; sched_group_barrier mask(0x00000008) size(3) SyncID(0)
	; sched_group_barrier mask(0x00000020) size(1) SyncID(0)
	v_mfma_f64_16x16x4_f64 v[58:65], v[190:191], v[130:131], v[58:65]
	v_mfma_f64_16x16x4_f64 v[58:65], v[192:193], v[132:133], v[58:65]
	; sched_group_barrier mask(0x00000008) size(3) SyncID(0)
	s_waitcnt vmcnt(2)
	v_xor_b32_e32 v211, v231, v213
	v_sub_u32_e32 v208, v211, v208
	v_lshlrev_b32_e32 v225, 5, v208
	v_add_u32_e32 v210, v210, v225
	v_add_u32_e32 v199, v199, v225
	v_xor_b32_e32 v213, v202, v213
	v_sub_u32_e32 v211, v213, v211
	v_lshl_add_u32 v224, v211, 2, 64
	v_lshlrev_b32_e32 v208, 2, v208
	s_waitcnt vmcnt(0)
	ds_write_b128 v210, v[94:97]
	scratch_load_dwordx4 v[94:97], off, off offset:436 ; 16-byte Folded Reload
	v_mfma_f64_16x16x4_f64 v[18:25], v[178:179], v[134:135], v[18:25]
	v_mfma_f64_16x16x4_f64 v[34:41], v[196:197], v[124:125], v[34:41]
	; sched_group_barrier mask(0x00000020) size(1) SyncID(0)
	v_mfma_f64_16x16x4_f64 v[18:25], v[180:181], v[136:137], v[18:25]
	; sched_group_barrier mask(0x00000008) size(3) SyncID(0)
	s_waitcnt vmcnt(0)
	ds_write_b128 v199, v[94:97]
	v_mov_b64_e32 v[94:95], v[214:215]
	v_mov_b64_e32 v[96:97], v[216:217]
	scratch_load_dwordx4 v[216:219], off, off offset:484 ; 16-byte Folded Reload
	v_mfma_f64_16x16x4_f64 v[18:25], v[174:175], v[130:131], v[18:25]
	v_mfma_f64_16x16x4_f64 v[2:9], v[178:179], v[122:123], v[2:9]
	v_lshlrev_b32_e32 v214, 5, v211
	v_add_u32_e32 v199, v199, v214
	v_lshlrev_b32_e32 v215, 3, v224
	; sched_group_barrier mask(0x00000020) size(1) SyncID(0)
	v_mfma_f64_16x16x4_f64 v[18:25], v[176:177], v[132:133], v[18:25]
	; sched_group_barrier mask(0x00000008) size(3) SyncID(0)
	s_waitcnt vmcnt(0)
	ds_write_b128 v199, v[216:219] offset:512
	scratch_load_dwordx4 v[216:219], off, off offset:500 ; 16-byte Folded Reload
	v_mfma_f64_16x16x4_f64 v[2:9], v[180:181], v[124:125], v[2:9]
	scratch_load_dwordx4 v[122:125], off, off offset:256 ; 16-byte Folded Reload
	v_add_u32_e32 v199, v210, v215
	; sched_group_barrier mask(0x00000020) size(1) SyncID(0)
	s_waitcnt vmcnt(1)
	ds_write_b128 v199, v[216:219]
	s_waitcnt vmcnt(0)
	v_mfma_f64_16x16x4_f64 v[58:65], v[170:171], v[122:123], v[58:65]
	v_mfma_f64_16x16x4_f64 v[58:65], v[172:173], v[124:125], v[58:65]
	scratch_load_dword v218, off, off offset:660 ; 4-byte Folded Reload
	v_mfma_f64_16x16x4_f64 v[18:25], v[154:155], v[122:123], v[18:25]
	; sched_group_barrier mask(0x00000008) size(3) SyncID(0)
	; sched_group_barrier mask(0x00000020) size(1) SyncID(0)
	v_mfma_f64_16x16x4_f64 v[18:25], v[156:157], v[124:125], v[18:25]
	scratch_load_dwordx4 v[250:253], off, off offset:452 ; 16-byte Folded Reload
	s_waitcnt vmcnt(1)
	v_xor_b32_e32 v202, v202, v218
	v_sub_u32_e32 v210, v202, v213
	v_lshlrev_b32_e32 v219, 5, v210
	v_add_u32_e32 v216, v199, v219
	v_add3_u32 v199, v200, v203, v206
	v_lshlrev_b32_e32 v230, 2, v210
	v_add3_u32 v199, v199, v205, v208
	v_add3_u32 v163, v199, v224, v230
	scratch_load_dwordx4 v[198:201], off, off offset:468 ; 16-byte Folded Reload
	scratch_load_dwordx4 v[210:213], off, off offset:404 ; 16-byte Folded Reload
	v_lshlrev_b32_e32 v217, 3, v163
	scratch_store_dword off, v163, off offset:628 ; 4-byte Folded Spill
	v_xor_b32_e32 v163, v231, v218
	s_waitcnt vmcnt(3)
	ds_write_b128 v216, v[250:253]
	scratch_store_dword off, v163, off offset:632 ; 4-byte Folded Spill
	s_waitcnt vmcnt(3)
	ds_write_b128 v217, v[198:201] offset:16
	v_sub_u32_e32 v199, v163, v202
	v_lshl_add_u32 v218, v199, 2, v162
	v_lshlrev_b32_e32 v202, 3, v218
	v_add3_u32 v217, v217, 16, v202
	s_waitcnt vmcnt(2)
	ds_write_b128 v217, v[210:213]
	scratch_load_dwordx4 v[210:213], off, off offset:324 ; 16-byte Folded Reload
	scratch_load_dword v217, off, off offset:764 ; 4-byte Folded Reload
	v_add_u32_e32 v216, v216, v202
	s_waitcnt vmcnt(1)
	ds_write_b128 v216, v[210:213]
	s_waitcnt vmcnt(0)
	v_add_u32_e32 v216, v217, v232
	buffer_load_dwordx4 v[162:165], v216, s[0:3], 0 offen offset:1024
	v_mov_b64_e32 v[212:213], v[184:185]
	v_mov_b64_e32 v[210:211], v[182:183]
	s_waitcnt vmcnt(0)
	scratch_store_dwordx4 off, v[162:165], off offset:564 ; 16-byte Folded Spill
	buffer_load_dwordx4 v[162:165], v216, s[0:3], 0 offen offset:1040
	s_waitcnt vmcnt(0)
	scratch_store_dwordx4 off, v[162:165], off offset:596 ; 16-byte Folded Spill
	s_nop 1
	v_mov_b64_e32 v[164:165], v[140:141]
	v_mov_b64_e32 v[162:163], v[138:139]
	;; [unrolled: 1-line block ×4, first 2 shown]
	s_nop 1
	v_mfma_f64_16x16x4_f64 v[10:17], v[246:247], v[138:139], v[10:17]
	v_mfma_f64_16x16x4_f64 v[10:17], v[248:249], v[140:141], v[10:17]
	scratch_load_dwordx4 v[182:185], off, off offset:32 ; 16-byte Folded Reload
	s_waitcnt vmcnt(0)
	v_mfma_f64_16x16x4_f64 v[42:49], v[66:67], v[182:183], v[42:49]
	v_mfma_f64_16x16x4_f64 v[26:33], v[220:221], v[182:183], v[26:33]
	;; [unrolled: 1-line block ×3, first 2 shown]
	scratch_load_dwordx4 v[118:121], off, off ; 16-byte Folded Reload
	s_waitcnt vmcnt(0)
	v_mfma_f64_16x16x4_f64 v[50:57], v[66:67], v[118:119], v[50:57]
	v_mfma_f64_16x16x4_f64 v[10:17], v[220:221], v[118:119], v[10:17]
	;; [unrolled: 1-line block ×3, first 2 shown]
	buffer_load_dwordx4 v[198:201], v216, s[0:3], 0 offen offset:1072
	v_mfma_f64_16x16x4_f64 v[10:17], v[222:223], v[120:121], v[10:17]
	scratch_load_dwordx4 v[118:121], off, off offset:128 ; 16-byte Folded Reload
	v_mfma_f64_16x16x4_f64 v[26:33], v[222:223], v[184:185], v[26:33]
	v_mfma_f64_16x16x4_f64 v[42:49], v[194:195], v[126:127], v[42:49]
	s_waitcnt vmcnt(1)
	scratch_store_dwordx4 off, v[198:201], off offset:612 ; 16-byte Folded Spill
	buffer_load_dwordx4 v[198:201], v216, s[0:3], 0 offen offset:1088
	v_mfma_f64_16x16x4_f64 v[42:49], v[196:197], v[128:129], v[42:49]
	s_waitcnt vmcnt(2)
	v_mfma_f64_16x16x4_f64 v[42:49], v[190:191], v[118:119], v[42:49]
	v_mfma_f64_16x16x4_f64 v[42:49], v[192:193], v[120:121], v[42:49]
	s_waitcnt vmcnt(0)
	scratch_store_dwordx4 off, v[198:201], off offset:420 ; 16-byte Folded Spill
	buffer_load_dwordx4 v[74:77], v216, s[0:3], 0 offen offset:1104
	v_mfma_f64_16x16x4_f64 v[26:33], v[178:179], v[126:127], v[26:33]
	v_mfma_f64_16x16x4_f64 v[26:33], v[180:181], v[128:129], v[26:33]
	v_mfma_f64_16x16x4_f64 v[26:33], v[174:175], v[118:119], v[26:33]
	s_waitcnt vmcnt(0)
	scratch_store_dwordx4 off, v[74:77], off offset:436 ; 16-byte Folded Spill
	buffer_load_dwordx4 v[66:69], v216, s[0:3], 0 offen offset:1136
	v_mfma_f64_16x16x4_f64 v[26:33], v[176:177], v[120:121], v[26:33]
	scratch_load_dwordx4 v[118:121], off, off offset:160 ; 16-byte Folded Reload
	s_waitcnt vmcnt(1)
	scratch_store_dwordx4 off, v[66:69], off offset:404 ; 16-byte Folded Spill
	buffer_load_dwordx4 v[66:69], v216, s[0:3], 0 offen offset:1120
	s_waitcnt vmcnt(0)
	scratch_store_dwordx4 off, v[66:69], off offset:324 ; 16-byte Folded Spill
	s_nop 1
	v_add_u32_e32 v66, v217, v254
	buffer_load_dwordx4 v[74:77], v66, s[0:3], 0 offen offset:1120
	v_lshlrev_b32_e32 v67, 3, v233
	v_add_u32_e32 v68, v203, v233
	v_add3_u32 v68, v68, v206, v205
	v_lshlrev_b32_e32 v69, 3, v68
	v_add_u32_e32 v68, v68, v208
	s_waitcnt vmcnt(0)
	scratch_store_dwordx4 off, v[74:77], off offset:452 ; 16-byte Folded Spill
	buffer_load_dwordx4 v[74:77], v66, s[0:3], 0 offen offset:1136
	s_waitcnt vmcnt(0)
	scratch_store_dwordx4 off, v[74:77], off offset:468 ; 16-byte Folded Spill
	buffer_load_dwordx4 v[74:77], v66, s[0:3], 0 offen offset:1104
	s_waitcnt vmcnt(0)
	scratch_store_dwordx4 off, v[74:77], off offset:484 ; 16-byte Folded Spill
	scratch_load_dwordx4 v[74:77], off, off offset:308 ; 16-byte Folded Reload
	s_waitcnt vmcnt(0)
	ds_write_b128 v67, v[74:77] offset:32768
	scratch_load_dwordx4 v[74:77], off, off offset:356 ; 16-byte Folded Reload
	s_waitcnt vmcnt(0)
	ds_write_b128 v67, v[74:77] offset:32784
	scratch_load_dwordx4 v[74:77], off, off offset:372 ; 16-byte Folded Reload
	v_add_u32_e32 v67, v204, v67
	ds_write_b128 v67, v[102:105] offset:32784
	ds_write_b128 v67, v[238:241] offset:32768
	v_add_u32_e32 v67, v67, v207
	ds_write_b128 v67, v[98:101] offset:32768
	ds_write_b128 v67, v[106:109] offset:32784
	v_add3_u32 v67, v67, s18, v209
	scratch_load_dwordx4 v[102:105], off, off offset:96 ; 16-byte Folded Reload
	scratch_load_dwordx4 v[106:109], off, off offset:112 ; 16-byte Folded Reload
	s_waitcnt vmcnt(2)
	ds_write_b128 v67, v[74:77]
	scratch_load_dwordx4 v[74:77], off, off offset:340 ; 16-byte Folded Reload
	v_add_u32_e32 v67, v67, v225
	s_waitcnt vmcnt(2)
	v_mfma_f64_16x16x4_f64 v[2:9], v[174:175], v[102:103], v[2:9]
	v_mfma_f64_16x16x4_f64 v[2:9], v[176:177], v[104:105], v[2:9]
	;; [unrolled: 1-line block ×4, first 2 shown]
	s_waitcnt vmcnt(0)
	ds_write_b128 v69, v[74:77] offset:32768
	scratch_load_dwordx4 v[74:77], off, off offset:388 ; 16-byte Folded Reload
	v_add3_u32 v69, v69, s22, v225
	s_waitcnt vmcnt(0)
	ds_write_b128 v69, v[74:77]
	buffer_load_dwordx4 v[74:77], v66, s[0:3], 0 offen offset:1088
	s_waitcnt vmcnt(0)
	scratch_store_dwordx4 off, v[74:77], off offset:500 ; 16-byte Folded Spill
	buffer_load_dwordx4 v[74:77], v66, s[0:3], 0 offen offset:1040
	s_nop 0
	buffer_load_dwordx4 v[98:101], v66, s[0:3], 0 offen offset:1024
	s_waitcnt vmcnt(1)
	scratch_store_dwordx4 off, v[74:77], off offset:532 ; 16-byte Folded Spill
	buffer_load_dwordx4 v[74:77], v66, s[0:3], 0 offen offset:1056
	s_waitcnt vmcnt(0)
	scratch_store_dwordx4 off, v[74:77], off offset:516 ; 16-byte Folded Spill
	buffer_load_dwordx4 v[74:77], v66, s[0:3], 0 offen offset:1072
	v_add_u32_e32 v66, v217, v1
	s_waitcnt vmcnt(0)
	scratch_store_dwordx4 off, v[74:77], off offset:548 ; 16-byte Folded Spill
	buffer_load_dwordx4 v[74:77], v66, s[4:7], 0 offen offset:1024
	s_waitcnt vmcnt(0)
	scratch_store_dwordx4 off, v[74:77], off offset:308 ; 16-byte Folded Spill
	buffer_load_dwordx4 v[74:77], v66, s[4:7], 0 offen offset:1040
	;; [unrolled: 3-line block ×5, first 2 shown]
	s_waitcnt vmcnt(0)
	scratch_store_dwordx4 off, v[74:77], off offset:388 ; 16-byte Folded Spill
	scratch_load_dwordx4 v[74:77], off, off offset:580 ; 16-byte Folded Reload
	s_waitcnt vmcnt(0)
	ds_write_b128 v67, v[74:77]
	v_add_u32_e32 v67, v67, v214
	ds_write_b128 v67, v[78:81] offset:512
	v_add_u32_e32 v67, v69, v215
	ds_write_b128 v67, v[90:93]
	v_add_u32_e32 v67, v67, v219
	ds_write_b128 v67, v[94:97]
	v_add3_u32 v94, v68, v224, v230
	v_lshlrev_b32_e32 v68, 3, v94
	ds_write_b128 v68, v[70:73] offset:32784
	v_add3_u32 v68, v68, s18, v202
	ds_write_b128 v68, v[114:117]
	scratch_load_dwordx4 v[68:71], off, off offset:636 ; 16-byte Folded Reload
	v_mov_b64_e32 v[116:117], v[100:101]
	v_add_u32_e32 v67, v67, v202
	v_mov_b64_e32 v[114:115], v[98:99]
	scratch_load_dwordx4 v[96:99], off, off offset:192 ; 16-byte Folded Reload
	buffer_load_dwordx4 v[74:77], v66, s[4:7], 0 offen offset:1104
	s_waitcnt vmcnt(2)
	ds_write_b128 v67, v[68:71]
	scratch_load_dwordx4 v[68:71], off, off offset:48 ; 16-byte Folded Reload
	s_waitcnt vmcnt(0)
	v_mfma_f64_16x16x4_f64 v[2:9], v[150:151], v[68:69], v[2:9]
	v_mfma_f64_16x16x4_f64 v[26:33], v[154:155], v[96:97], v[26:33]
	scratch_store_dwordx4 off, v[74:77], off offset:580 ; 16-byte Folded Spill
	buffer_load_dwordx4 v[206:209], v66, s[4:7], 0 offen offset:1136
	v_mfma_f64_16x16x4_f64 v[26:33], v[156:157], v[98:99], v[26:33]
	v_mfma_f64_16x16x4_f64 v[50:57], v[194:195], v[106:107], v[50:57]
	scratch_load_dwordx4 v[72:75], off, off offset:64 ; 16-byte Folded Reload
	v_mfma_f64_16x16x4_f64 v[50:57], v[196:197], v[108:109], v[50:57]
	v_mfma_f64_16x16x4_f64 v[10:17], v[178:179], v[106:107], v[10:17]
	;; [unrolled: 1-line block ×3, first 2 shown]
	scratch_load_dwordx4 v[106:109], off, off offset:80 ; 16-byte Folded Reload
	s_waitcnt vmcnt(0)
	v_mfma_f64_16x16x4_f64 v[26:33], v[150:151], v[106:107], v[26:33]
	v_mfma_f64_16x16x4_f64 v[26:33], v[152:153], v[108:109], v[26:33]
	;; [unrolled: 1-line block ×3, first 2 shown]
	scratch_load_dwordx4 v[100:103], off, off offset:240 ; 16-byte Folded Reload
	s_waitcnt vmcnt(0)
	v_mfma_f64_16x16x4_f64 v[18:25], v[150:151], v[100:101], v[18:25]
	v_mfma_f64_16x16x4_f64 v[18:25], v[152:153], v[102:103], v[18:25]
	buffer_load_dwordx4 v[250:253], v216, s[0:3], 0 offen offset:1056
	v_mfma_f64_16x16x4_f64 v[42:49], v[170:171], v[96:97], v[42:49]
	v_mfma_f64_16x16x4_f64 v[18:25], v[86:87], v[210:211], v[18:25]
	;; [unrolled: 1-line block ×20, first 2 shown]
	buffer_load_dwordx4 v[234:237], v66, s[4:7], 0 offen offset:1120
	v_add_u32_e32 v66, v217, v255
	buffer_load_dwordx4 v[214:217], v66, s[4:7], 0 offen offset:1120
	buffer_load_dwordx4 v[90:93], v66, s[4:7], 0 offen offset:1136
	buffer_load_dwordx4 v[202:205], v66, s[4:7], 0 offen offset:1104
	buffer_load_dwordx4 v[78:81], v66, s[4:7], 0 offen offset:1088
	buffer_load_dwordx4 v[238:241], v66, s[4:7], 0 offen offset:1024
	buffer_load_dwordx4 v[102:105], v66, s[4:7], 0 offen offset:1040
	buffer_load_dwordx4 v[98:101], v66, s[4:7], 0 offen offset:1056
	buffer_load_dwordx4 v[106:109], v66, s[4:7], 0 offen offset:1072
	v_mfma_f64_16x16x4_f64 v[58:65], v[82:83], v[146:147], v[58:65]
	scratch_load_dwordx4 v[66:69], off, off offset:224 ; 16-byte Folded Reload
	v_mfma_f64_16x16x4_f64 v[58:65], v[84:85], v[148:149], v[58:65]
	s_waitcnt vmcnt(0)
	v_mfma_f64_16x16x4_f64 v[26:33], v[86:87], v[66:67], v[26:33]
	v_mfma_f64_16x16x4_f64 v[26:33], v[88:89], v[68:69], v[26:33]
	;; [unrolled: 1-line block ×4, first 2 shown]
	scratch_load_dwordx4 v[66:69], off, off offset:144 ; 16-byte Folded Reload
	v_mfma_f64_16x16x4_f64 v[34:41], v[168:169], v[70:71], v[34:41]
	s_waitcnt lgkmcnt(0)
	s_barrier
	s_waitcnt vmcnt(0)
	v_mfma_f64_16x16x4_f64 v[34:41], v[110:111], v[66:67], v[34:41]
	v_mfma_f64_16x16x4_f64 v[34:41], v[112:113], v[68:69], v[34:41]
	;; [unrolled: 1-line block ×3, first 2 shown]
	scratch_load_dword v70, off, off offset:668 ; 4-byte Folded Reload
	v_mfma_f64_16x16x4_f64 v[10:17], v[154:155], v[72:73], v[10:17]
	; sched_group_barrier mask(0x00000008) size(3) SyncID(0)
	; sched_group_barrier mask(0x00000020) size(1) SyncID(0)
	;; [unrolled: 1-line block ×8, first 2 shown]
	v_mfma_f64_16x16x4_f64 v[34:41], v[82:83], v[158:159], v[34:41]
	v_mfma_f64_16x16x4_f64 v[2:9], v[86:87], v[66:67], v[2:9]
	scratch_load_dword v66, off, off offset:664 ; 4-byte Folded Reload
	v_mfma_f64_16x16x4_f64 v[10:17], v[156:157], v[74:75], v[10:17]
	v_mfma_f64_16x16x4_f64 v[34:41], v[84:85], v[160:161], v[34:41]
	;; [unrolled: 1-line block ×7, first 2 shown]
	; sched_group_barrier mask(0x00000008) size(3) SyncID(0)
	; sched_group_barrier mask(0x00000020) size(1) SyncID(0)
	;; [unrolled: 1-line block ×24, first 2 shown]
	v_mfma_f64_16x16x4_f64 v[2:9], v[228:229], v[160:161], v[2:9]
	v_mfma_f64_16x16x4_f64 v[10:17], v[86:87], v[142:143], v[10:17]
	;; [unrolled: 1-line block ×3, first 2 shown]
	scratch_load_dword v86, off, off offset:716 ; 4-byte Folded Reload
	scratch_load_dword v87, off, off offset:756 ; 4-byte Folded Reload
	v_mfma_f64_16x16x4_f64 v[10:17], v[88:89], v[144:145], v[10:17]
	v_mfma_f64_16x16x4_f64 v[50:57], v[166:167], v[242:243], v[50:57]
	;; [unrolled: 1-line block ×4, first 2 shown]
	; sched_group_barrier mask(0x00000008) size(3) SyncID(0)
	; sched_group_barrier mask(0x00000020) size(1) SyncID(0)
	;; [unrolled: 1-line block ×7, first 2 shown]
	v_mfma_f64_16x16x4_f64 v[10:17], v[228:229], v[164:165], v[10:17]
	v_mfma_f64_16x16x4_f64 v[50:57], v[110:111], v[142:143], v[50:57]
	;; [unrolled: 1-line block ×4, first 2 shown]
	s_waitcnt vmcnt(3)
	ds_read_b128 v[246:249], v70 offset:16384
	ds_read_b128 v[220:223], v70 offset:16400
	scratch_load_dword v70, off, off offset:672 ; 4-byte Folded Reload
	v_mfma_f64_16x16x4_f64 v[50:57], v[84:85], v[164:165], v[50:57]
	s_waitcnt vmcnt(0)
	v_add_u32_e32 v70, v86, v70
	ds_read_b128 v[118:121], v70 offset:40960
	ds_read_b128 v[70:73], v70 offset:40976
	s_waitcnt lgkmcnt(0)
	scratch_store_dwordx4 off, v[70:73], off ; 16-byte Folded Spill
	scratch_load_dword v70, off, off offset:676 ; 4-byte Folded Reload
	s_waitcnt vmcnt(0)
	v_add_u32_e32 v70, v86, v70
	ds_read_b128 v[130:133], v70 offset:49152
	ds_read_b128 v[70:73], v70 offset:49168
	s_waitcnt lgkmcnt(0)
	scratch_store_dwordx4 off, v[70:73], off offset:32 ; 16-byte Folded Spill
	scratch_load_dword v70, off, off offset:680 ; 4-byte Folded Reload
	s_waitcnt vmcnt(0)
	v_add_u32_e32 v70, v86, v70
	ds_read_b128 v[134:137], v70 offset:57344
	ds_read_b128 v[126:129], v70 offset:57360
	scratch_load_dwordx4 v[70:73], off, off offset:16 ; 16-byte Folded Reload
	ds_read_b128 v[186:189], v86 offset:32768
	ds_read_b128 v[122:125], v86 offset:32784
	ds_read_b128 v[74:77], v66
	ds_read_b128 v[66:69], v66 offset:16
	; sched_group_barrier mask(0x00000100) size(2) SyncID(0)
	; sched_group_barrier mask(0x00000008) size(1) SyncID(0)
	;; [unrolled: 1-line block ×12, first 2 shown]
	s_waitcnt vmcnt(0)
	v_mfma_f64_16x16x4_f64 v[42:49], v[82:83], v[70:71], v[42:49]
	v_mfma_f64_16x16x4_f64 v[26:33], v[226:227], v[70:71], v[26:33]
	scratch_load_dword v70, off, off offset:304 ; 4-byte Folded Reload
	scratch_load_dword v71, off, off offset:628 ; 4-byte Folded Reload
	;; [unrolled: 1-line block ×4, first 2 shown]
	v_mfma_f64_16x16x4_f64 v[42:49], v[84:85], v[72:73], v[42:49]
	v_mfma_f64_16x16x4_f64 v[26:33], v[228:229], v[72:73], v[26:33]
	scratch_load_dword v72, off, off offset:704 ; 4-byte Folded Reload
	scratch_load_dword v73, off, off offset:724 ; 4-byte Folded Reload
	;; [unrolled: 1-line block ×4, first 2 shown]
	s_waitcnt vmcnt(7)
	v_xor_b32_e32 v219, v231, v70
	scratch_load_dword v70, off, off offset:632 ; 4-byte Folded Reload
	s_waitcnt vmcnt(6)
	v_add_u32_e32 v82, v86, v82
	s_waitcnt vmcnt(5)
	v_add_u32_e32 v83, v86, v83
	;; [unrolled: 2-line block ×6, first 2 shown]
	ds_read_b128 v[142:145], v84 offset:40960
	ds_read_b128 v[138:141], v84 offset:40976
	;; [unrolled: 1-line block ×3, first 2 shown]
	s_waitcnt vmcnt(0)
	v_sub_u32_e32 v70, v219, v70
	v_lshlrev_b32_e32 v70, 2, v70
	v_add3_u32 v200, v71, v218, v70
	v_add3_u32 v233, v94, v218, v70
	scratch_load_dword v70, off, off offset:696 ; 4-byte Folded Reload
	scratch_load_dword v71, off, off offset:700 ; 4-byte Folded Reload
	scratch_load_dwordx4 v[94:97], off, off offset:612 ; 16-byte Folded Reload
	s_waitcnt vmcnt(2)
	v_add_u32_e32 v70, v86, v70
	ds_read_b128 v[110:113], v70 offset:40960
	s_waitcnt vmcnt(1)
	v_add_u32_e32 v71, v86, v71
	v_add_u32_e32 v86, v86, v87
	ds_read_b128 v[158:161], v86 offset:57360
	ds_read_b128 v[210:213], v70 offset:40976
	s_waitcnt lgkmcnt(2)
	scratch_store_dwordx4 off, v[110:113], off offset:112 ; 16-byte Folded Spill
	ds_read_b128 v[110:113], v71 offset:49152
	s_waitcnt lgkmcnt(0)
	scratch_store_dwordx4 off, v[110:113], off offset:208 ; 16-byte Folded Spill
	;; [unrolled: 3-line block ×5, first 2 shown]
	ds_read_b128 v[110:113], v73 offset:40960
	scratch_load_dwordx4 v[70:73], off, off offset:596 ; 16-byte Folded Reload
	s_waitcnt lgkmcnt(0)
	scratch_store_dwordx4 off, v[110:113], off offset:64 ; 16-byte Folded Spill
	ds_read_b128 v[110:113], v82 offset:49152
	s_waitcnt lgkmcnt(0)
	scratch_store_dwordx4 off, v[110:113], off offset:192 ; 16-byte Folded Spill
	ds_read_b128 v[110:113], v82 offset:49168
	scratch_load_dword v82, off, off offset:684 ; 4-byte Folded Reload
	s_waitcnt vmcnt(0)
	ds_read_b128 v[194:197], v82
	ds_read_b128 v[190:193], v82 offset:16
	scratch_load_dword v82, off, off offset:688 ; 4-byte Folded Reload
	s_waitcnt vmcnt(0)
	ds_read_b128 v[178:181], v82 offset:16384
	ds_read_b128 v[174:177], v82 offset:16400
	scratch_load_dword v82, off, off offset:692 ; 4-byte Folded Reload
	s_waitcnt lgkmcnt(4)
	scratch_store_dwordx4 off, v[110:113], off offset:80 ; 16-byte Folded Spill
	ds_read_b128 v[110:113], v83 offset:57344
	s_waitcnt lgkmcnt(0)
	scratch_store_dwordx4 off, v[110:113], off offset:160 ; 16-byte Folded Spill
	ds_read_b128 v[110:113], v83 offset:57360
	;; [unrolled: 3-line block ×5, first 2 shown]
	s_waitcnt lgkmcnt(0)
	scratch_store_dwordx4 off, v[110:113], off offset:144 ; 16-byte Folded Spill
	s_waitcnt vmcnt(6)
	ds_read_b128 v[84:87], v82 offset:32768
	s_waitcnt lgkmcnt(0)
	scratch_store_dwordx4 off, v[84:87], off offset:288 ; 16-byte Folded Spill
	ds_read_b128 v[82:85], v82 offset:32784
	s_waitcnt lgkmcnt(0)
	scratch_store_dwordx4 off, v[82:85], off offset:272 ; 16-byte Folded Spill
	scratch_load_dword v82, off, off offset:708 ; 4-byte Folded Reload
	s_nop 0
	scratch_load_dword v83, off, off offset:720 ; 4-byte Folded Reload
	s_waitcnt vmcnt(1)
	ds_read_b128 v[170:173], v82
	ds_read_b128 v[166:169], v82 offset:16
	scratch_load_dword v82, off, off offset:712 ; 4-byte Folded Reload
	s_waitcnt vmcnt(1)
	ds_read_b128 v[84:87], v83 offset:32768
	s_waitcnt lgkmcnt(0)
	scratch_store_dwordx4 off, v[84:87], off offset:256 ; 16-byte Folded Spill
	ds_read_b128 v[84:87], v83 offset:32784
	scratch_load_dword v83, off, off offset:740 ; 4-byte Folded Reload
	s_waitcnt vmcnt(2)
	ds_read_b128 v[154:157], v82 offset:16384
	ds_read_b128 v[150:153], v82 offset:16400
	scratch_load_dword v82, off, off offset:744 ; 4-byte Folded Reload
	s_waitcnt vmcnt(1)
	ds_read_b128 v[226:229], v83 offset:16400
	s_waitcnt lgkmcnt(3)
	scratch_store_dwordx4 off, v[84:87], off offset:240 ; 16-byte Folded Spill
	ds_read_b128 v[86:89], v83 offset:16384
	s_waitcnt vmcnt(1)
	ds_read_b128 v[182:185], v82 offset:32768
	ds_read_b128 v[146:149], v82 offset:32784
	scratch_load_dword v82, off, off offset:736 ; 4-byte Folded Reload
	s_waitcnt vmcnt(0)
	ds_read_b128 v[110:113], v82
	ds_read_b128 v[82:85], v82 offset:16
	; sched_barrier mask(0x00000000)
	scratch_load_dword v162, off, off offset:768 ; 4-byte Folded Reload
	s_add_i32 s23, s23, -1
	v_add_u32_e32 v255, 0x200, v255
	v_add_u32_e32 v1, 0x200, v1
	;; [unrolled: 1-line block ×3, first 2 shown]
	s_cmp_lg_u32 s23, 0
	v_add_u32_e32 v232, 0x200, v232
	s_waitcnt vmcnt(0)
	v_add_u32_e32 v0, v0, v162
	s_cbranch_scc1 .LBB2_11
; %bb.12:
	v_mfma_f64_16x16x4_f64 v[58:65], v[74:75], v[186:187], v[58:65]
	scratch_load_dwordx4 v[70:73], off, off ; 16-byte Folded Reload
	scratch_load_dwordx4 v[96:99], off, off offset:176 ; 16-byte Folded Reload
	scratch_load_dwordx4 v[100:103], off, off offset:208 ; 16-byte Folded Reload
	;; [unrolled: 1-line block ×4, first 2 shown]
	s_lshl_b64 s[0:1], s[10:11], 3
	s_add_u32 s24, s8, s0
	v_mfma_f64_16x16x4_f64 v[50:57], v[74:75], v[118:119], v[50:57]
	s_mul_i32 s15, s15, s21
	s_mul_hi_u32 s0, s14, s21
	s_addc_u32 s25, s9, s1
	s_add_i32 s0, s0, s15
	s_add_i32 s0, s17, s0
	s_lshl_b32 s26, s0, 3
	s_mov_b32 s27, 0x20000
	v_mfma_f64_16x16x4_f64 v[42:49], v[74:75], v[130:131], v[42:49]
	v_mfma_f64_16x16x4_f64 v[34:41], v[74:75], v[134:135], v[34:41]
	v_mfma_f64_16x16x4_f64 v[58:65], v[76:77], v[188:189], v[58:65]
	v_mfma_f64_16x16x4_f64 v[50:57], v[76:77], v[120:121], v[50:57]
	v_mfma_f64_16x16x4_f64 v[26:33], v[246:247], v[130:131], v[26:33]
	v_mfma_f64_16x16x4_f64 v[10:17], v[246:247], v[118:119], v[10:17]
	scratch_load_dwordx4 v[116:119], off, off offset:288 ; 16-byte Folded Reload
	v_mfma_f64_16x16x4_f64 v[2:9], v[246:247], v[134:135], v[2:9]
	v_mfma_f64_16x16x4_f64 v[42:49], v[76:77], v[132:133], v[42:49]
	;; [unrolled: 1-line block ×3, first 2 shown]
	scratch_load_dwordx4 v[74:77], off, off offset:32 ; 16-byte Folded Reload
	v_mfma_f64_16x16x4_f64 v[58:65], v[66:67], v[122:123], v[58:65]
	v_mfma_f64_16x16x4_f64 v[26:33], v[248:249], v[132:133], v[26:33]
	;; [unrolled: 1-line block ×13, first 2 shown]
	s_waitcnt vmcnt(6)
	v_mfma_f64_16x16x4_f64 v[50:57], v[66:67], v[70:71], v[50:57]
	v_mfma_f64_16x16x4_f64 v[10:17], v[220:221], v[70:71], v[10:17]
	s_waitcnt vmcnt(5)
	v_mfma_f64_16x16x4_f64 v[34:41], v[194:195], v[96:97], v[34:41]
	v_mfma_f64_16x16x4_f64 v[2:9], v[178:179], v[96:97], v[2:9]
	scratch_load_dwordx4 v[94:97], off, off offset:160 ; 16-byte Folded Reload
	v_mfma_f64_16x16x4_f64 v[50:57], v[68:69], v[72:73], v[50:57]
	v_mfma_f64_16x16x4_f64 v[10:17], v[222:223], v[72:73], v[10:17]
	scratch_load_dwordx4 v[70:73], off, off offset:64 ; 16-byte Folded Reload
	v_mfma_f64_16x16x4_f64 v[34:41], v[196:197], v[98:99], v[34:41]
	v_mfma_f64_16x16x4_f64 v[2:9], v[180:181], v[98:99], v[2:9]
	s_waitcnt vmcnt(3)
	v_mfma_f64_16x16x4_f64 v[58:65], v[194:195], v[116:117], v[58:65]
	v_mfma_f64_16x16x4_f64 v[18:25], v[178:179], v[116:117], v[18:25]
	scratch_load_dwordx4 v[114:117], off, off offset:256 ; 16-byte Folded Reload
	s_waitcnt vmcnt(3)
	v_mfma_f64_16x16x4_f64 v[42:49], v[66:67], v[74:75], v[42:49]
	v_mfma_f64_16x16x4_f64 v[26:33], v[220:221], v[74:75], v[26:33]
	;; [unrolled: 1-line block ×5, first 2 shown]
	scratch_load_dwordx4 v[66:69], off, off offset:112 ; 16-byte Folded Reload
	v_mfma_f64_16x16x4_f64 v[26:33], v[222:223], v[76:77], v[26:33]
	scratch_load_dwordx4 v[76:79], off, off offset:96 ; 16-byte Folded Reload
	v_mfma_f64_16x16x4_f64 v[58:65], v[190:191], v[106:107], v[58:65]
	v_mfma_f64_16x16x4_f64 v[18:25], v[174:175], v[106:107], v[18:25]
	scratch_load_dwordx4 v[104:107], off, off offset:240 ; 16-byte Folded Reload
	v_mfma_f64_16x16x4_f64 v[42:49], v[194:195], v[100:101], v[42:49]
	v_mfma_f64_16x16x4_f64 v[26:33], v[178:179], v[100:101], v[26:33]
	;; [unrolled: 1-line block ×6, first 2 shown]
	scratch_load_dwordx4 v[100:103], off, off offset:192 ; 16-byte Folded Reload
	v_mfma_f64_16x16x4_f64 v[42:49], v[190:191], v[90:91], v[42:49]
	v_mfma_f64_16x16x4_f64 v[26:33], v[174:175], v[90:91], v[26:33]
	;; [unrolled: 1-line block ×4, first 2 shown]
	scratch_load_dwordx4 v[90:93], off, off offset:224 ; 16-byte Folded Reload
	s_waitcnt vmcnt(5)
	v_mfma_f64_16x16x4_f64 v[58:65], v[170:171], v[114:115], v[58:65]
	s_waitcnt lgkmcnt(7)
	v_mfma_f64_16x16x4_f64 v[18:25], v[154:155], v[114:115], v[18:25]
	v_mfma_f64_16x16x4_f64 v[58:65], v[172:173], v[116:117], v[58:65]
	v_mfma_f64_16x16x4_f64 v[18:25], v[156:157], v[116:117], v[18:25]
	s_waitcnt vmcnt(4)
	v_mfma_f64_16x16x4_f64 v[50:57], v[194:195], v[66:67], v[50:57]
	v_mfma_f64_16x16x4_f64 v[10:17], v[178:179], v[66:67], v[10:17]
	s_waitcnt vmcnt(3)
	v_mfma_f64_16x16x4_f64 v[34:41], v[190:191], v[76:77], v[34:41]
	v_mfma_f64_16x16x4_f64 v[2:9], v[174:175], v[76:77], v[2:9]
	scratch_load_dwordx4 v[74:77], off, off offset:80 ; 16-byte Folded Reload
	s_waitcnt vmcnt(3)
	v_mfma_f64_16x16x4_f64 v[58:65], v[166:167], v[104:105], v[58:65]
	s_waitcnt lgkmcnt(6)
	v_mfma_f64_16x16x4_f64 v[18:25], v[150:151], v[104:105], v[18:25]
	v_mfma_f64_16x16x4_f64 v[50:57], v[196:197], v[68:69], v[50:57]
	v_mfma_f64_16x16x4_f64 v[10:17], v[180:181], v[68:69], v[10:17]
	scratch_load_dwordx4 v[66:69], off, off offset:48 ; 16-byte Folded Reload
	v_mfma_f64_16x16x4_f64 v[34:41], v[192:193], v[78:79], v[34:41]
	v_mfma_f64_16x16x4_f64 v[2:9], v[176:177], v[78:79], v[2:9]
	scratch_load_dwordx4 v[78:81], off, off offset:144 ; 16-byte Folded Reload
	v_mfma_f64_16x16x4_f64 v[58:65], v[168:169], v[106:107], v[58:65]
	v_mfma_f64_16x16x4_f64 v[18:25], v[152:153], v[106:107], v[18:25]
	;; [unrolled: 1-line block ×4, first 2 shown]
	s_waitcnt vmcnt(4)
	v_mfma_f64_16x16x4_f64 v[42:49], v[170:171], v[100:101], v[42:49]
	v_mfma_f64_16x16x4_f64 v[34:41], v[170:171], v[94:95], v[34:41]
	;; [unrolled: 1-line block ×4, first 2 shown]
	s_waitcnt lgkmcnt(1)
	v_mfma_f64_16x16x4_f64 v[58:65], v[110:111], v[182:183], v[58:65]
	v_mfma_f64_16x16x4_f64 v[18:25], v[86:87], v[182:183], v[18:25]
	;; [unrolled: 1-line block ×12, first 2 shown]
	scratch_load_dword v70, off, off offset:776 ; 4-byte Folded Reload
	s_waitcnt lgkmcnt(0)
	v_mfma_f64_16x16x4_f64 v[58:65], v[82:83], v[146:147], v[58:65]
	v_mfma_f64_16x16x4_f64 v[18:25], v[226:227], v[146:147], v[18:25]
	;; [unrolled: 1-line block ×16, first 2 shown]
	s_waitcnt vmcnt(3)
	v_mfma_f64_16x16x4_f64 v[42:49], v[166:167], v[74:75], v[42:49]
	v_mfma_f64_16x16x4_f64 v[26:33], v[150:151], v[74:75], v[26:33]
	scratch_load_dwordx4 v[72:75], off, off offset:16 ; 16-byte Folded Reload
	v_mfma_f64_16x16x4_f64 v[50:57], v[84:85], v[140:141], v[50:57]
	v_mfma_f64_16x16x4_f64 v[10:17], v[228:229], v[140:141], v[10:17]
	s_waitcnt vmcnt(3)
	v_mfma_f64_16x16x4_f64 v[34:41], v[166:167], v[66:67], v[34:41]
	v_mfma_f64_16x16x4_f64 v[2:9], v[150:151], v[66:67], v[2:9]
	scratch_load_dword v66, off, off offset:772 ; 4-byte Folded Reload
	scratch_load_dword v67, off, off offset:780 ; 4-byte Folded Reload
	s_waitcnt lgkmcnt(0)
	s_barrier
	v_mfma_f64_16x16x4_f64 v[42:49], v[168:169], v[76:77], v[42:49]
	v_mfma_f64_16x16x4_f64 v[26:33], v[152:153], v[76:77], v[26:33]
	;; [unrolled: 1-line block ×6, first 2 shown]
	s_waitcnt vmcnt(4)
	v_mfma_f64_16x16x4_f64 v[34:41], v[110:111], v[78:79], v[34:41]
	v_mfma_f64_16x16x4_f64 v[2:9], v[86:87], v[78:79], v[2:9]
	;; [unrolled: 1-line block ×4, first 2 shown]
	s_waitcnt vmcnt(3)
	v_lshl_or_b32 v69, s12, 6, v70
	v_cmp_gt_i32_e64 s[6:7], s16, v69
	v_mfma_f64_16x16x4_f64 v[34:41], v[112:113], v[80:81], v[34:41]
	v_mfma_f64_16x16x4_f64 v[2:9], v[88:89], v[80:81], v[2:9]
	;; [unrolled: 1-line block ×6, first 2 shown]
	s_waitcnt vmcnt(2)
	v_mfma_f64_16x16x4_f64 v[42:49], v[82:83], v[72:73], v[42:49]
	v_mfma_f64_16x16x4_f64 v[26:33], v[226:227], v[72:73], v[26:33]
	s_waitcnt vmcnt(1)
	v_lshlrev_b32_e32 v0, 3, v66
	v_lshlrev_b32_e32 v66, 1, v66
	v_and_b32_e32 v1, 0x200, v0
	v_and_b32_e32 v66, 0x60, v66
	;; [unrolled: 1-line block ×3, first 2 shown]
	s_waitcnt vmcnt(0)
	v_or3_b32 v67, v66, v1, v67
	v_or_b32_e32 v66, s13, v68
	v_mad_u64_u32 v[0:1], s[2:3], v69, s21, v[66:67]
	v_lshlrev_b32_e32 v1, 3, v67
	v_add_u32_e32 v67, 0x800, v1
	ds_write2_b64 v67, v[64:65], v[56:57] offset0:128 offset1:144
	ds_write2_b64 v67, v[62:63], v[54:55] offset1:16
	ds_write2_b64 v1, v[60:61], v[52:53] offset0:128 offset1:144
	ds_write2_b64 v1, v[58:59], v[50:51] offset1:16
	s_waitcnt lgkmcnt(0)
	s_barrier
	v_lshlrev_b32_e32 v50, 3, v68
	v_lshl_or_b32 v58, v70, 8, v50
	ds_read_b128 v[50:53], v58
	v_cmp_gt_i32_e32 vcc, s17, v66
	s_and_b64 s[0:1], s[6:7], vcc
	v_bfrev_b32_e32 v60, 1
	v_lshlrev_b32_e32 v59, 3, v0
	v_cndmask_b32_e64 v54, v60, 0, s[0:1]
	v_add_u32_e32 v61, v54, v59
	ds_read_b128 v[54:57], v58 offset:16
	s_waitcnt lgkmcnt(1)
	buffer_store_dwordx4 v[50:53], v61, s[24:27], 0 offen
	v_mfma_f64_16x16x4_f64 v[42:49], v[84:85], v[74:75], v[42:49]
	v_mfma_f64_16x16x4_f64 v[26:33], v[228:229], v[74:75], v[26:33]
	v_or_b32_e32 v50, 2, v66
	v_cmp_gt_i32_e64 s[2:3], s17, v50
	s_and_b64 s[0:1], s[6:7], s[2:3]
	v_cndmask_b32_e64 v50, v60, 0, s[0:1]
	v_add_u32_e32 v50, v59, v50
	s_waitcnt lgkmcnt(0)
	buffer_store_dwordx4 v[54:57], v50, s[24:27], 0 offen offset:16
	ds_read_b128 v[50:53], v58 offset:32
	s_nop 0
	v_or_b32_e32 v54, 4, v66
	v_cmp_gt_i32_e64 s[0:1], s17, v54
	s_and_b64 s[4:5], s[6:7], s[0:1]
	v_cndmask_b32_e64 v54, v60, 0, s[4:5]
	v_add_u32_e32 v61, v59, v54
	ds_read_b128 v[54:57], v58 offset:48
	s_waitcnt lgkmcnt(1)
	buffer_store_dwordx4 v[50:53], v61, s[24:27], 0 offen offset:32
	s_nop 1
	v_or_b32_e32 v50, 6, v66
	v_cmp_gt_i32_e64 s[4:5], s17, v50
	s_and_b64 s[8:9], s[6:7], s[4:5]
	v_cndmask_b32_e64 v50, v60, 0, s[8:9]
	v_add_u32_e32 v50, v59, v50
	s_waitcnt lgkmcnt(0)
	buffer_store_dwordx4 v[54:57], v50, s[24:27], 0 offen offset:48
	s_waitcnt lgkmcnt(0)
	s_barrier
	ds_write2_b64 v67, v[48:49], v[40:41] offset0:128 offset1:144
	ds_write2_b64 v67, v[46:47], v[38:39] offset1:16
	ds_write2_b64 v1, v[44:45], v[36:37] offset0:128 offset1:144
	ds_write2_b64 v1, v[42:43], v[34:35] offset1:16
	s_waitcnt lgkmcnt(0)
	s_barrier
	ds_read_b128 v[34:37], v58
	v_or_b32_e32 v50, 32, v66
	v_cmp_gt_i32_e64 s[8:9], s17, v50
	s_and_b64 s[10:11], s[6:7], s[8:9]
	v_add_u32_e32 v51, 32, v0
	v_cndmask_b32_e64 v38, v60, 0, s[10:11]
	v_lshl_add_u32 v42, v51, 3, v38
	ds_read_b128 v[38:41], v58 offset:16
	s_waitcnt lgkmcnt(1)
	buffer_store_dwordx4 v[34:37], v42, s[24:27], 0 offen
	s_nop 1
	v_or_b32_e32 v34, 34, v66
	v_cmp_gt_i32_e64 s[10:11], s17, v34
	s_and_b64 s[12:13], s[6:7], s[10:11]
	v_cndmask_b32_e64 v34, v60, 0, s[12:13]
	v_add_u32_e32 v34, v59, v34
	s_waitcnt lgkmcnt(0)
	buffer_store_dwordx4 v[38:41], v34, s[24:27], 0 offen offset:272
	ds_read_b128 v[34:37], v58 offset:32
	s_nop 0
	v_or_b32_e32 v38, 36, v66
	v_cmp_gt_i32_e64 s[12:13], s17, v38
	s_and_b64 s[14:15], s[6:7], s[12:13]
	v_cndmask_b32_e64 v38, v60, 0, s[14:15]
	v_add_u32_e32 v42, v59, v38
	ds_read_b128 v[38:41], v58 offset:48
	s_waitcnt lgkmcnt(1)
	buffer_store_dwordx4 v[34:37], v42, s[24:27], 0 offen offset:288
	s_nop 1
	v_or_b32_e32 v34, 38, v66
	v_cmp_gt_i32_e64 s[14:15], s17, v34
	s_and_b64 s[6:7], s[6:7], s[14:15]
	s_lshl_b32 s17, s21, 5
	v_cndmask_b32_e64 v34, v60, 0, s[6:7]
	v_add_u32_e32 v34, v59, v34
	s_waitcnt lgkmcnt(0)
	buffer_store_dwordx4 v[38:41], v34, s[24:27], 0 offen offset:304
	s_waitcnt lgkmcnt(0)
	s_barrier
	ds_write2_b64 v67, v[32:33], v[8:9] offset0:128 offset1:144
	ds_write2_b64 v67, v[30:31], v[6:7] offset1:16
	ds_write2_b64 v1, v[28:29], v[4:5] offset0:128 offset1:144
	ds_write2_b64 v1, v[26:27], v[2:3] offset1:16
	s_waitcnt lgkmcnt(0)
	s_barrier
	ds_read_b128 v[2:5], v58
	v_or_b32_e32 v34, 32, v69
	v_cmp_gt_i32_e64 s[6:7], s16, v34
	s_and_b64 s[8:9], s[6:7], s[8:9]
	s_and_b64 s[2:3], s[6:7], s[2:3]
	;; [unrolled: 1-line block ×3, first 2 shown]
	v_add_lshl_u32 v26, v51, s17, 3
	v_cndmask_b32_e64 v6, v60, 0, s[8:9]
	s_and_b64 s[8:9], s[6:7], s[10:11]
	v_add_u32_e32 v27, v26, v6
	ds_read_b128 v[6:9], v58 offset:16
	s_waitcnt lgkmcnt(1)
	buffer_store_dwordx4 v[2:5], v27, s[24:27], 0 offen
	v_mov_b32_e32 v27, 0x80000020
	s_nop 0
	v_mov_b32_e32 v2, 0x80000010
	v_cndmask_b32_e64 v2, v2, 16, s[8:9]
	s_and_b64 s[8:9], s[6:7], s[12:13]
	v_add_u32_e32 v2, v26, v2
	s_waitcnt lgkmcnt(0)
	buffer_store_dwordx4 v[6:9], v2, s[24:27], 0 offen
	ds_read_b128 v[2:5], v58 offset:32
	ds_read_b128 v[6:9], v58 offset:48
	v_cndmask_b32_e64 v27, v27, 32, s[8:9]
	s_and_b64 s[8:9], s[6:7], s[14:15]
	v_add_u32_e32 v27, v26, v27
	s_waitcnt lgkmcnt(1)
	buffer_store_dwordx4 v[2:5], v27, s[24:27], 0 offen
	s_nop 1
	v_mov_b32_e32 v2, 0x80000030
	v_cndmask_b32_e64 v2, v2, 48, s[8:9]
	s_and_b64 s[8:9], vcc, s[6:7]
	v_add_u32_e32 v2, v26, v2
	s_waitcnt lgkmcnt(0)
	buffer_store_dwordx4 v[6:9], v2, s[24:27], 0 offen
	s_waitcnt lgkmcnt(0)
	s_barrier
	ds_write2_b64 v67, v[24:25], v[16:17] offset0:128 offset1:144
	ds_write2_b64 v67, v[22:23], v[14:15] offset1:16
	ds_write2_b64 v1, v[20:21], v[12:13] offset0:128 offset1:144
	ds_write2_b64 v1, v[18:19], v[10:11] offset1:16
	s_waitcnt lgkmcnt(0)
	s_barrier
	ds_read_b128 v[2:5], v58
	ds_read_b128 v[6:9], v58 offset:16
	v_add_lshl_u32 v10, v0, s17, 3
	v_cndmask_b32_e64 v0, v60, 0, s[8:9]
	v_add_u32_e32 v0, v0, v10
	s_waitcnt lgkmcnt(1)
	buffer_store_dwordx4 v[2:5], v0, s[24:27], 0 offen
	v_cndmask_b32_e64 v0, v60, 0, s[2:3]
	v_add_u32_e32 v0, v10, v0
	s_waitcnt lgkmcnt(0)
	buffer_store_dwordx4 v[6:9], v0, s[24:27], 0 offen offset:16
	ds_read_b128 v[0:3], v58 offset:32
	ds_read_b128 v[4:7], v58 offset:48
	v_cndmask_b32_e64 v8, v60, 0, s[0:1]
	s_and_b64 s[0:1], s[6:7], s[4:5]
	v_add_u32_e32 v8, v10, v8
	s_waitcnt lgkmcnt(1)
	buffer_store_dwordx4 v[0:3], v8, s[24:27], 0 offen offset:32
	s_nop 1
	v_cndmask_b32_e64 v0, v60, 0, s[0:1]
	v_add_u32_e32 v0, v10, v0
	s_waitcnt lgkmcnt(0)
	buffer_store_dwordx4 v[4:7], v0, s[24:27], 0 offen offset:48
	s_endpgm
	.section	.rodata,"a",@progbits
	.p2align	6, 0x0
	.amdhsa_kernel _ZN2ck27kernel_gemm_xdl_cshuffle_v3INS_28GridwiseGemm_xdl_cshuffle_v3INS_13tensor_layout4gemm8RowMajorENS3_11ColumnMajorES4_dddddNS_16tensor_operation12element_wise11PassThroughES8_S8_LNS6_6device18GemmSpecializationE0ELi128ELi64ELi64ELi64ELi4ELi4ELi16ELi16ELi2ELi4ENS_8SequenceIJLi4ELi32ELi1EEEENSB_IJLi1ELi0ELi2EEEESD_Li2ELi2ELi2ELb0ELi0ESC_SD_SD_Li2ELi2ELi2ELb0ELi0ELi1ELi2ENSB_IJLi1ELi32ELi1ELi4EEEELi2ELNS_26BlockGemmPipelineSchedulerE0ELNS_24BlockGemmPipelineVersionE2EddLb0ELb0ELb0ELi0ELb0EEELb1ELNS_25InMemoryDataOperationEnumE0ELi2ELNS_10TailNumberE10EEEvNT_8ArgumentE
		.amdhsa_group_segment_fixed_size 65536
		.amdhsa_private_segment_fixed_size 788
		.amdhsa_kernarg_size 112
		.amdhsa_user_sgpr_count 2
		.amdhsa_user_sgpr_dispatch_ptr 0
		.amdhsa_user_sgpr_queue_ptr 0
		.amdhsa_user_sgpr_kernarg_segment_ptr 1
		.amdhsa_user_sgpr_dispatch_id 0
		.amdhsa_user_sgpr_kernarg_preload_length 0
		.amdhsa_user_sgpr_kernarg_preload_offset 0
		.amdhsa_user_sgpr_private_segment_size 0
		.amdhsa_uses_dynamic_stack 0
		.amdhsa_enable_private_segment 1
		.amdhsa_system_sgpr_workgroup_id_x 1
		.amdhsa_system_sgpr_workgroup_id_y 0
		.amdhsa_system_sgpr_workgroup_id_z 1
		.amdhsa_system_sgpr_workgroup_info 0
		.amdhsa_system_vgpr_workitem_id 0
		.amdhsa_next_free_vgpr 256
		.amdhsa_next_free_sgpr 28
		.amdhsa_accum_offset 256
		.amdhsa_reserve_vcc 1
		.amdhsa_float_round_mode_32 0
		.amdhsa_float_round_mode_16_64 0
		.amdhsa_float_denorm_mode_32 3
		.amdhsa_float_denorm_mode_16_64 3
		.amdhsa_dx10_clamp 1
		.amdhsa_ieee_mode 1
		.amdhsa_fp16_overflow 0
		.amdhsa_tg_split 0
		.amdhsa_exception_fp_ieee_invalid_op 0
		.amdhsa_exception_fp_denorm_src 0
		.amdhsa_exception_fp_ieee_div_zero 0
		.amdhsa_exception_fp_ieee_overflow 0
		.amdhsa_exception_fp_ieee_underflow 0
		.amdhsa_exception_fp_ieee_inexact 0
		.amdhsa_exception_int_div_zero 0
	.end_amdhsa_kernel
	.section	.text._ZN2ck27kernel_gemm_xdl_cshuffle_v3INS_28GridwiseGemm_xdl_cshuffle_v3INS_13tensor_layout4gemm8RowMajorENS3_11ColumnMajorES4_dddddNS_16tensor_operation12element_wise11PassThroughES8_S8_LNS6_6device18GemmSpecializationE0ELi128ELi64ELi64ELi64ELi4ELi4ELi16ELi16ELi2ELi4ENS_8SequenceIJLi4ELi32ELi1EEEENSB_IJLi1ELi0ELi2EEEESD_Li2ELi2ELi2ELb0ELi0ESC_SD_SD_Li2ELi2ELi2ELb0ELi0ELi1ELi2ENSB_IJLi1ELi32ELi1ELi4EEEELi2ELNS_26BlockGemmPipelineSchedulerE0ELNS_24BlockGemmPipelineVersionE2EddLb0ELb0ELb0ELi0ELb0EEELb1ELNS_25InMemoryDataOperationEnumE0ELi2ELNS_10TailNumberE10EEEvNT_8ArgumentE,"axG",@progbits,_ZN2ck27kernel_gemm_xdl_cshuffle_v3INS_28GridwiseGemm_xdl_cshuffle_v3INS_13tensor_layout4gemm8RowMajorENS3_11ColumnMajorES4_dddddNS_16tensor_operation12element_wise11PassThroughES8_S8_LNS6_6device18GemmSpecializationE0ELi128ELi64ELi64ELi64ELi4ELi4ELi16ELi16ELi2ELi4ENS_8SequenceIJLi4ELi32ELi1EEEENSB_IJLi1ELi0ELi2EEEESD_Li2ELi2ELi2ELb0ELi0ESC_SD_SD_Li2ELi2ELi2ELb0ELi0ELi1ELi2ENSB_IJLi1ELi32ELi1ELi4EEEELi2ELNS_26BlockGemmPipelineSchedulerE0ELNS_24BlockGemmPipelineVersionE2EddLb0ELb0ELb0ELi0ELb0EEELb1ELNS_25InMemoryDataOperationEnumE0ELi2ELNS_10TailNumberE10EEEvNT_8ArgumentE,comdat
.Lfunc_end2:
	.size	_ZN2ck27kernel_gemm_xdl_cshuffle_v3INS_28GridwiseGemm_xdl_cshuffle_v3INS_13tensor_layout4gemm8RowMajorENS3_11ColumnMajorES4_dddddNS_16tensor_operation12element_wise11PassThroughES8_S8_LNS6_6device18GemmSpecializationE0ELi128ELi64ELi64ELi64ELi4ELi4ELi16ELi16ELi2ELi4ENS_8SequenceIJLi4ELi32ELi1EEEENSB_IJLi1ELi0ELi2EEEESD_Li2ELi2ELi2ELb0ELi0ESC_SD_SD_Li2ELi2ELi2ELb0ELi0ELi1ELi2ENSB_IJLi1ELi32ELi1ELi4EEEELi2ELNS_26BlockGemmPipelineSchedulerE0ELNS_24BlockGemmPipelineVersionE2EddLb0ELb0ELb0ELi0ELb0EEELb1ELNS_25InMemoryDataOperationEnumE0ELi2ELNS_10TailNumberE10EEEvNT_8ArgumentE, .Lfunc_end2-_ZN2ck27kernel_gemm_xdl_cshuffle_v3INS_28GridwiseGemm_xdl_cshuffle_v3INS_13tensor_layout4gemm8RowMajorENS3_11ColumnMajorES4_dddddNS_16tensor_operation12element_wise11PassThroughES8_S8_LNS6_6device18GemmSpecializationE0ELi128ELi64ELi64ELi64ELi4ELi4ELi16ELi16ELi2ELi4ENS_8SequenceIJLi4ELi32ELi1EEEENSB_IJLi1ELi0ELi2EEEESD_Li2ELi2ELi2ELb0ELi0ESC_SD_SD_Li2ELi2ELi2ELb0ELi0ELi1ELi2ENSB_IJLi1ELi32ELi1ELi4EEEELi2ELNS_26BlockGemmPipelineSchedulerE0ELNS_24BlockGemmPipelineVersionE2EddLb0ELb0ELb0ELi0ELb0EEELb1ELNS_25InMemoryDataOperationEnumE0ELi2ELNS_10TailNumberE10EEEvNT_8ArgumentE
                                        ; -- End function
	.section	.AMDGPU.csdata,"",@progbits
; Kernel info:
; codeLenInByte = 10236
; NumSgprs: 34
; NumVgprs: 256
; NumAgprs: 0
; TotalNumVgprs: 256
; ScratchSize: 788
; MemoryBound: 0
; FloatMode: 240
; IeeeMode: 1
; LDSByteSize: 65536 bytes/workgroup (compile time only)
; SGPRBlocks: 4
; VGPRBlocks: 31
; NumSGPRsForWavesPerEU: 34
; NumVGPRsForWavesPerEU: 256
; AccumOffset: 256
; Occupancy: 1
; WaveLimiterHint : 0
; COMPUTE_PGM_RSRC2:SCRATCH_EN: 1
; COMPUTE_PGM_RSRC2:USER_SGPR: 2
; COMPUTE_PGM_RSRC2:TRAP_HANDLER: 0
; COMPUTE_PGM_RSRC2:TGID_X_EN: 1
; COMPUTE_PGM_RSRC2:TGID_Y_EN: 0
; COMPUTE_PGM_RSRC2:TGID_Z_EN: 1
; COMPUTE_PGM_RSRC2:TIDIG_COMP_CNT: 0
; COMPUTE_PGM_RSRC3_GFX90A:ACCUM_OFFSET: 63
; COMPUTE_PGM_RSRC3_GFX90A:TG_SPLIT: 0
	.section	.text._ZN2ck27kernel_gemm_xdl_cshuffle_v3INS_28GridwiseGemm_xdl_cshuffle_v3INS_13tensor_layout4gemm8RowMajorENS3_11ColumnMajorES4_dddddNS_16tensor_operation12element_wise11PassThroughES8_S8_LNS6_6device18GemmSpecializationE0ELi128ELi64ELi64ELi64ELi4ELi4ELi16ELi16ELi2ELi2ENS_8SequenceIJLi4ELi32ELi1EEEENSB_IJLi1ELi0ELi2EEEESD_Li2ELi2ELi2ELb0ELi0ESC_SD_SD_Li2ELi2ELi2ELb0ELi0ELi1ELi2ENSB_IJLi1ELi32ELi1ELi4EEEELi2ELNS_26BlockGemmPipelineSchedulerE0ELNS_24BlockGemmPipelineVersionE2EddLb0ELb0ELb0ELi0ELb0EEELb1ELNS_25InMemoryDataOperationEnumE1ELi2ELNS_10TailNumberE10EEEvNT_8ArgumentE,"axG",@progbits,_ZN2ck27kernel_gemm_xdl_cshuffle_v3INS_28GridwiseGemm_xdl_cshuffle_v3INS_13tensor_layout4gemm8RowMajorENS3_11ColumnMajorES4_dddddNS_16tensor_operation12element_wise11PassThroughES8_S8_LNS6_6device18GemmSpecializationE0ELi128ELi64ELi64ELi64ELi4ELi4ELi16ELi16ELi2ELi2ENS_8SequenceIJLi4ELi32ELi1EEEENSB_IJLi1ELi0ELi2EEEESD_Li2ELi2ELi2ELb0ELi0ESC_SD_SD_Li2ELi2ELi2ELb0ELi0ELi1ELi2ENSB_IJLi1ELi32ELi1ELi4EEEELi2ELNS_26BlockGemmPipelineSchedulerE0ELNS_24BlockGemmPipelineVersionE2EddLb0ELb0ELb0ELi0ELb0EEELb1ELNS_25InMemoryDataOperationEnumE1ELi2ELNS_10TailNumberE10EEEvNT_8ArgumentE,comdat
	.protected	_ZN2ck27kernel_gemm_xdl_cshuffle_v3INS_28GridwiseGemm_xdl_cshuffle_v3INS_13tensor_layout4gemm8RowMajorENS3_11ColumnMajorES4_dddddNS_16tensor_operation12element_wise11PassThroughES8_S8_LNS6_6device18GemmSpecializationE0ELi128ELi64ELi64ELi64ELi4ELi4ELi16ELi16ELi2ELi2ENS_8SequenceIJLi4ELi32ELi1EEEENSB_IJLi1ELi0ELi2EEEESD_Li2ELi2ELi2ELb0ELi0ESC_SD_SD_Li2ELi2ELi2ELb0ELi0ELi1ELi2ENSB_IJLi1ELi32ELi1ELi4EEEELi2ELNS_26BlockGemmPipelineSchedulerE0ELNS_24BlockGemmPipelineVersionE2EddLb0ELb0ELb0ELi0ELb0EEELb1ELNS_25InMemoryDataOperationEnumE1ELi2ELNS_10TailNumberE10EEEvNT_8ArgumentE ; -- Begin function _ZN2ck27kernel_gemm_xdl_cshuffle_v3INS_28GridwiseGemm_xdl_cshuffle_v3INS_13tensor_layout4gemm8RowMajorENS3_11ColumnMajorES4_dddddNS_16tensor_operation12element_wise11PassThroughES8_S8_LNS6_6device18GemmSpecializationE0ELi128ELi64ELi64ELi64ELi4ELi4ELi16ELi16ELi2ELi2ENS_8SequenceIJLi4ELi32ELi1EEEENSB_IJLi1ELi0ELi2EEEESD_Li2ELi2ELi2ELb0ELi0ESC_SD_SD_Li2ELi2ELi2ELb0ELi0ELi1ELi2ENSB_IJLi1ELi32ELi1ELi4EEEELi2ELNS_26BlockGemmPipelineSchedulerE0ELNS_24BlockGemmPipelineVersionE2EddLb0ELb0ELb0ELi0ELb0EEELb1ELNS_25InMemoryDataOperationEnumE1ELi2ELNS_10TailNumberE10EEEvNT_8ArgumentE
	.globl	_ZN2ck27kernel_gemm_xdl_cshuffle_v3INS_28GridwiseGemm_xdl_cshuffle_v3INS_13tensor_layout4gemm8RowMajorENS3_11ColumnMajorES4_dddddNS_16tensor_operation12element_wise11PassThroughES8_S8_LNS6_6device18GemmSpecializationE0ELi128ELi64ELi64ELi64ELi4ELi4ELi16ELi16ELi2ELi2ENS_8SequenceIJLi4ELi32ELi1EEEENSB_IJLi1ELi0ELi2EEEESD_Li2ELi2ELi2ELb0ELi0ESC_SD_SD_Li2ELi2ELi2ELb0ELi0ELi1ELi2ENSB_IJLi1ELi32ELi1ELi4EEEELi2ELNS_26BlockGemmPipelineSchedulerE0ELNS_24BlockGemmPipelineVersionE2EddLb0ELb0ELb0ELi0ELb0EEELb1ELNS_25InMemoryDataOperationEnumE1ELi2ELNS_10TailNumberE10EEEvNT_8ArgumentE
	.p2align	8
	.type	_ZN2ck27kernel_gemm_xdl_cshuffle_v3INS_28GridwiseGemm_xdl_cshuffle_v3INS_13tensor_layout4gemm8RowMajorENS3_11ColumnMajorES4_dddddNS_16tensor_operation12element_wise11PassThroughES8_S8_LNS6_6device18GemmSpecializationE0ELi128ELi64ELi64ELi64ELi4ELi4ELi16ELi16ELi2ELi2ENS_8SequenceIJLi4ELi32ELi1EEEENSB_IJLi1ELi0ELi2EEEESD_Li2ELi2ELi2ELb0ELi0ESC_SD_SD_Li2ELi2ELi2ELb0ELi0ELi1ELi2ENSB_IJLi1ELi32ELi1ELi4EEEELi2ELNS_26BlockGemmPipelineSchedulerE0ELNS_24BlockGemmPipelineVersionE2EddLb0ELb0ELb0ELi0ELb0EEELb1ELNS_25InMemoryDataOperationEnumE1ELi2ELNS_10TailNumberE10EEEvNT_8ArgumentE,@function
_ZN2ck27kernel_gemm_xdl_cshuffle_v3INS_28GridwiseGemm_xdl_cshuffle_v3INS_13tensor_layout4gemm8RowMajorENS3_11ColumnMajorES4_dddddNS_16tensor_operation12element_wise11PassThroughES8_S8_LNS6_6device18GemmSpecializationE0ELi128ELi64ELi64ELi64ELi4ELi4ELi16ELi16ELi2ELi2ENS_8SequenceIJLi4ELi32ELi1EEEENSB_IJLi1ELi0ELi2EEEESD_Li2ELi2ELi2ELb0ELi0ESC_SD_SD_Li2ELi2ELi2ELb0ELi0ELi1ELi2ENSB_IJLi1ELi32ELi1ELi4EEEELi2ELNS_26BlockGemmPipelineSchedulerE0ELNS_24BlockGemmPipelineVersionE2EddLb0ELb0ELb0ELi0ELb0EEELb1ELNS_25InMemoryDataOperationEnumE1ELi2ELNS_10TailNumberE10EEEvNT_8ArgumentE: ; @_ZN2ck27kernel_gemm_xdl_cshuffle_v3INS_28GridwiseGemm_xdl_cshuffle_v3INS_13tensor_layout4gemm8RowMajorENS3_11ColumnMajorES4_dddddNS_16tensor_operation12element_wise11PassThroughES8_S8_LNS6_6device18GemmSpecializationE0ELi128ELi64ELi64ELi64ELi4ELi4ELi16ELi16ELi2ELi2ENS_8SequenceIJLi4ELi32ELi1EEEENSB_IJLi1ELi0ELi2EEEESD_Li2ELi2ELi2ELb0ELi0ESC_SD_SD_Li2ELi2ELi2ELb0ELi0ELi1ELi2ENSB_IJLi1ELi32ELi1ELi4EEEELi2ELNS_26BlockGemmPipelineSchedulerE0ELNS_24BlockGemmPipelineVersionE2EddLb0ELb0ELb0ELi0ELb0EEELb1ELNS_25InMemoryDataOperationEnumE1ELi2ELNS_10TailNumberE10EEEvNT_8ArgumentE
; %bb.0:
	s_endpgm
	.section	.rodata,"a",@progbits
	.p2align	6, 0x0
	.amdhsa_kernel _ZN2ck27kernel_gemm_xdl_cshuffle_v3INS_28GridwiseGemm_xdl_cshuffle_v3INS_13tensor_layout4gemm8RowMajorENS3_11ColumnMajorES4_dddddNS_16tensor_operation12element_wise11PassThroughES8_S8_LNS6_6device18GemmSpecializationE0ELi128ELi64ELi64ELi64ELi4ELi4ELi16ELi16ELi2ELi2ENS_8SequenceIJLi4ELi32ELi1EEEENSB_IJLi1ELi0ELi2EEEESD_Li2ELi2ELi2ELb0ELi0ESC_SD_SD_Li2ELi2ELi2ELb0ELi0ELi1ELi2ENSB_IJLi1ELi32ELi1ELi4EEEELi2ELNS_26BlockGemmPipelineSchedulerE0ELNS_24BlockGemmPipelineVersionE2EddLb0ELb0ELb0ELi0ELb0EEELb1ELNS_25InMemoryDataOperationEnumE1ELi2ELNS_10TailNumberE10EEEvNT_8ArgumentE
		.amdhsa_group_segment_fixed_size 0
		.amdhsa_private_segment_fixed_size 0
		.amdhsa_kernarg_size 112
		.amdhsa_user_sgpr_count 2
		.amdhsa_user_sgpr_dispatch_ptr 0
		.amdhsa_user_sgpr_queue_ptr 0
		.amdhsa_user_sgpr_kernarg_segment_ptr 1
		.amdhsa_user_sgpr_dispatch_id 0
		.amdhsa_user_sgpr_kernarg_preload_length 0
		.amdhsa_user_sgpr_kernarg_preload_offset 0
		.amdhsa_user_sgpr_private_segment_size 0
		.amdhsa_uses_dynamic_stack 0
		.amdhsa_enable_private_segment 0
		.amdhsa_system_sgpr_workgroup_id_x 1
		.amdhsa_system_sgpr_workgroup_id_y 0
		.amdhsa_system_sgpr_workgroup_id_z 0
		.amdhsa_system_sgpr_workgroup_info 0
		.amdhsa_system_vgpr_workitem_id 0
		.amdhsa_next_free_vgpr 1
		.amdhsa_next_free_sgpr 0
		.amdhsa_accum_offset 4
		.amdhsa_reserve_vcc 0
		.amdhsa_float_round_mode_32 0
		.amdhsa_float_round_mode_16_64 0
		.amdhsa_float_denorm_mode_32 3
		.amdhsa_float_denorm_mode_16_64 3
		.amdhsa_dx10_clamp 1
		.amdhsa_ieee_mode 1
		.amdhsa_fp16_overflow 0
		.amdhsa_tg_split 0
		.amdhsa_exception_fp_ieee_invalid_op 0
		.amdhsa_exception_fp_denorm_src 0
		.amdhsa_exception_fp_ieee_div_zero 0
		.amdhsa_exception_fp_ieee_overflow 0
		.amdhsa_exception_fp_ieee_underflow 0
		.amdhsa_exception_fp_ieee_inexact 0
		.amdhsa_exception_int_div_zero 0
	.end_amdhsa_kernel
	.section	.text._ZN2ck27kernel_gemm_xdl_cshuffle_v3INS_28GridwiseGemm_xdl_cshuffle_v3INS_13tensor_layout4gemm8RowMajorENS3_11ColumnMajorES4_dddddNS_16tensor_operation12element_wise11PassThroughES8_S8_LNS6_6device18GemmSpecializationE0ELi128ELi64ELi64ELi64ELi4ELi4ELi16ELi16ELi2ELi2ENS_8SequenceIJLi4ELi32ELi1EEEENSB_IJLi1ELi0ELi2EEEESD_Li2ELi2ELi2ELb0ELi0ESC_SD_SD_Li2ELi2ELi2ELb0ELi0ELi1ELi2ENSB_IJLi1ELi32ELi1ELi4EEEELi2ELNS_26BlockGemmPipelineSchedulerE0ELNS_24BlockGemmPipelineVersionE2EddLb0ELb0ELb0ELi0ELb0EEELb1ELNS_25InMemoryDataOperationEnumE1ELi2ELNS_10TailNumberE10EEEvNT_8ArgumentE,"axG",@progbits,_ZN2ck27kernel_gemm_xdl_cshuffle_v3INS_28GridwiseGemm_xdl_cshuffle_v3INS_13tensor_layout4gemm8RowMajorENS3_11ColumnMajorES4_dddddNS_16tensor_operation12element_wise11PassThroughES8_S8_LNS6_6device18GemmSpecializationE0ELi128ELi64ELi64ELi64ELi4ELi4ELi16ELi16ELi2ELi2ENS_8SequenceIJLi4ELi32ELi1EEEENSB_IJLi1ELi0ELi2EEEESD_Li2ELi2ELi2ELb0ELi0ESC_SD_SD_Li2ELi2ELi2ELb0ELi0ELi1ELi2ENSB_IJLi1ELi32ELi1ELi4EEEELi2ELNS_26BlockGemmPipelineSchedulerE0ELNS_24BlockGemmPipelineVersionE2EddLb0ELb0ELb0ELi0ELb0EEELb1ELNS_25InMemoryDataOperationEnumE1ELi2ELNS_10TailNumberE10EEEvNT_8ArgumentE,comdat
.Lfunc_end3:
	.size	_ZN2ck27kernel_gemm_xdl_cshuffle_v3INS_28GridwiseGemm_xdl_cshuffle_v3INS_13tensor_layout4gemm8RowMajorENS3_11ColumnMajorES4_dddddNS_16tensor_operation12element_wise11PassThroughES8_S8_LNS6_6device18GemmSpecializationE0ELi128ELi64ELi64ELi64ELi4ELi4ELi16ELi16ELi2ELi2ENS_8SequenceIJLi4ELi32ELi1EEEENSB_IJLi1ELi0ELi2EEEESD_Li2ELi2ELi2ELb0ELi0ESC_SD_SD_Li2ELi2ELi2ELb0ELi0ELi1ELi2ENSB_IJLi1ELi32ELi1ELi4EEEELi2ELNS_26BlockGemmPipelineSchedulerE0ELNS_24BlockGemmPipelineVersionE2EddLb0ELb0ELb0ELi0ELb0EEELb1ELNS_25InMemoryDataOperationEnumE1ELi2ELNS_10TailNumberE10EEEvNT_8ArgumentE, .Lfunc_end3-_ZN2ck27kernel_gemm_xdl_cshuffle_v3INS_28GridwiseGemm_xdl_cshuffle_v3INS_13tensor_layout4gemm8RowMajorENS3_11ColumnMajorES4_dddddNS_16tensor_operation12element_wise11PassThroughES8_S8_LNS6_6device18GemmSpecializationE0ELi128ELi64ELi64ELi64ELi4ELi4ELi16ELi16ELi2ELi2ENS_8SequenceIJLi4ELi32ELi1EEEENSB_IJLi1ELi0ELi2EEEESD_Li2ELi2ELi2ELb0ELi0ESC_SD_SD_Li2ELi2ELi2ELb0ELi0ELi1ELi2ENSB_IJLi1ELi32ELi1ELi4EEEELi2ELNS_26BlockGemmPipelineSchedulerE0ELNS_24BlockGemmPipelineVersionE2EddLb0ELb0ELb0ELi0ELb0EEELb1ELNS_25InMemoryDataOperationEnumE1ELi2ELNS_10TailNumberE10EEEvNT_8ArgumentE
                                        ; -- End function
	.section	.AMDGPU.csdata,"",@progbits
; Kernel info:
; codeLenInByte = 4
; NumSgprs: 6
; NumVgprs: 0
; NumAgprs: 0
; TotalNumVgprs: 0
; ScratchSize: 0
; MemoryBound: 0
; FloatMode: 240
; IeeeMode: 1
; LDSByteSize: 0 bytes/workgroup (compile time only)
; SGPRBlocks: 0
; VGPRBlocks: 0
; NumSGPRsForWavesPerEU: 6
; NumVGPRsForWavesPerEU: 1
; AccumOffset: 4
; Occupancy: 8
; WaveLimiterHint : 0
; COMPUTE_PGM_RSRC2:SCRATCH_EN: 0
; COMPUTE_PGM_RSRC2:USER_SGPR: 2
; COMPUTE_PGM_RSRC2:TRAP_HANDLER: 0
; COMPUTE_PGM_RSRC2:TGID_X_EN: 1
; COMPUTE_PGM_RSRC2:TGID_Y_EN: 0
; COMPUTE_PGM_RSRC2:TGID_Z_EN: 0
; COMPUTE_PGM_RSRC2:TIDIG_COMP_CNT: 0
; COMPUTE_PGM_RSRC3_GFX90A:ACCUM_OFFSET: 0
; COMPUTE_PGM_RSRC3_GFX90A:TG_SPLIT: 0
	.section	.text._ZN2ck27kernel_gemm_xdl_cshuffle_v3INS_28GridwiseGemm_xdl_cshuffle_v3INS_13tensor_layout4gemm8RowMajorENS3_11ColumnMajorES4_dddddNS_16tensor_operation12element_wise11PassThroughES8_S8_LNS6_6device18GemmSpecializationE0ELi128ELi64ELi64ELi64ELi4ELi4ELi16ELi16ELi2ELi2ENS_8SequenceIJLi4ELi32ELi1EEEENSB_IJLi1ELi0ELi2EEEESD_Li2ELi2ELi2ELb0ELi0ESC_SD_SD_Li2ELi2ELi2ELb0ELi0ELi1ELi2ENSB_IJLi1ELi32ELi1ELi4EEEELi2ELNS_26BlockGemmPipelineSchedulerE0ELNS_24BlockGemmPipelineVersionE2EddLb0ELb0ELb0ELi0ELb0EEELb1ELNS_25InMemoryDataOperationEnumE0ELi2ELNS_10TailNumberE10EEEvNT_8ArgumentE,"axG",@progbits,_ZN2ck27kernel_gemm_xdl_cshuffle_v3INS_28GridwiseGemm_xdl_cshuffle_v3INS_13tensor_layout4gemm8RowMajorENS3_11ColumnMajorES4_dddddNS_16tensor_operation12element_wise11PassThroughES8_S8_LNS6_6device18GemmSpecializationE0ELi128ELi64ELi64ELi64ELi4ELi4ELi16ELi16ELi2ELi2ENS_8SequenceIJLi4ELi32ELi1EEEENSB_IJLi1ELi0ELi2EEEESD_Li2ELi2ELi2ELb0ELi0ESC_SD_SD_Li2ELi2ELi2ELb0ELi0ELi1ELi2ENSB_IJLi1ELi32ELi1ELi4EEEELi2ELNS_26BlockGemmPipelineSchedulerE0ELNS_24BlockGemmPipelineVersionE2EddLb0ELb0ELb0ELi0ELb0EEELb1ELNS_25InMemoryDataOperationEnumE0ELi2ELNS_10TailNumberE10EEEvNT_8ArgumentE,comdat
	.protected	_ZN2ck27kernel_gemm_xdl_cshuffle_v3INS_28GridwiseGemm_xdl_cshuffle_v3INS_13tensor_layout4gemm8RowMajorENS3_11ColumnMajorES4_dddddNS_16tensor_operation12element_wise11PassThroughES8_S8_LNS6_6device18GemmSpecializationE0ELi128ELi64ELi64ELi64ELi4ELi4ELi16ELi16ELi2ELi2ENS_8SequenceIJLi4ELi32ELi1EEEENSB_IJLi1ELi0ELi2EEEESD_Li2ELi2ELi2ELb0ELi0ESC_SD_SD_Li2ELi2ELi2ELb0ELi0ELi1ELi2ENSB_IJLi1ELi32ELi1ELi4EEEELi2ELNS_26BlockGemmPipelineSchedulerE0ELNS_24BlockGemmPipelineVersionE2EddLb0ELb0ELb0ELi0ELb0EEELb1ELNS_25InMemoryDataOperationEnumE0ELi2ELNS_10TailNumberE10EEEvNT_8ArgumentE ; -- Begin function _ZN2ck27kernel_gemm_xdl_cshuffle_v3INS_28GridwiseGemm_xdl_cshuffle_v3INS_13tensor_layout4gemm8RowMajorENS3_11ColumnMajorES4_dddddNS_16tensor_operation12element_wise11PassThroughES8_S8_LNS6_6device18GemmSpecializationE0ELi128ELi64ELi64ELi64ELi4ELi4ELi16ELi16ELi2ELi2ENS_8SequenceIJLi4ELi32ELi1EEEENSB_IJLi1ELi0ELi2EEEESD_Li2ELi2ELi2ELb0ELi0ESC_SD_SD_Li2ELi2ELi2ELb0ELi0ELi1ELi2ENSB_IJLi1ELi32ELi1ELi4EEEELi2ELNS_26BlockGemmPipelineSchedulerE0ELNS_24BlockGemmPipelineVersionE2EddLb0ELb0ELb0ELi0ELb0EEELb1ELNS_25InMemoryDataOperationEnumE0ELi2ELNS_10TailNumberE10EEEvNT_8ArgumentE
	.globl	_ZN2ck27kernel_gemm_xdl_cshuffle_v3INS_28GridwiseGemm_xdl_cshuffle_v3INS_13tensor_layout4gemm8RowMajorENS3_11ColumnMajorES4_dddddNS_16tensor_operation12element_wise11PassThroughES8_S8_LNS6_6device18GemmSpecializationE0ELi128ELi64ELi64ELi64ELi4ELi4ELi16ELi16ELi2ELi2ENS_8SequenceIJLi4ELi32ELi1EEEENSB_IJLi1ELi0ELi2EEEESD_Li2ELi2ELi2ELb0ELi0ESC_SD_SD_Li2ELi2ELi2ELb0ELi0ELi1ELi2ENSB_IJLi1ELi32ELi1ELi4EEEELi2ELNS_26BlockGemmPipelineSchedulerE0ELNS_24BlockGemmPipelineVersionE2EddLb0ELb0ELb0ELi0ELb0EEELb1ELNS_25InMemoryDataOperationEnumE0ELi2ELNS_10TailNumberE10EEEvNT_8ArgumentE
	.p2align	8
	.type	_ZN2ck27kernel_gemm_xdl_cshuffle_v3INS_28GridwiseGemm_xdl_cshuffle_v3INS_13tensor_layout4gemm8RowMajorENS3_11ColumnMajorES4_dddddNS_16tensor_operation12element_wise11PassThroughES8_S8_LNS6_6device18GemmSpecializationE0ELi128ELi64ELi64ELi64ELi4ELi4ELi16ELi16ELi2ELi2ENS_8SequenceIJLi4ELi32ELi1EEEENSB_IJLi1ELi0ELi2EEEESD_Li2ELi2ELi2ELb0ELi0ESC_SD_SD_Li2ELi2ELi2ELb0ELi0ELi1ELi2ENSB_IJLi1ELi32ELi1ELi4EEEELi2ELNS_26BlockGemmPipelineSchedulerE0ELNS_24BlockGemmPipelineVersionE2EddLb0ELb0ELb0ELi0ELb0EEELb1ELNS_25InMemoryDataOperationEnumE0ELi2ELNS_10TailNumberE10EEEvNT_8ArgumentE,@function
_ZN2ck27kernel_gemm_xdl_cshuffle_v3INS_28GridwiseGemm_xdl_cshuffle_v3INS_13tensor_layout4gemm8RowMajorENS3_11ColumnMajorES4_dddddNS_16tensor_operation12element_wise11PassThroughES8_S8_LNS6_6device18GemmSpecializationE0ELi128ELi64ELi64ELi64ELi4ELi4ELi16ELi16ELi2ELi2ENS_8SequenceIJLi4ELi32ELi1EEEENSB_IJLi1ELi0ELi2EEEESD_Li2ELi2ELi2ELb0ELi0ESC_SD_SD_Li2ELi2ELi2ELb0ELi0ELi1ELi2ENSB_IJLi1ELi32ELi1ELi4EEEELi2ELNS_26BlockGemmPipelineSchedulerE0ELNS_24BlockGemmPipelineVersionE2EddLb0ELb0ELb0ELi0ELb0EEELb1ELNS_25InMemoryDataOperationEnumE0ELi2ELNS_10TailNumberE10EEEvNT_8ArgumentE: ; @_ZN2ck27kernel_gemm_xdl_cshuffle_v3INS_28GridwiseGemm_xdl_cshuffle_v3INS_13tensor_layout4gemm8RowMajorENS3_11ColumnMajorES4_dddddNS_16tensor_operation12element_wise11PassThroughES8_S8_LNS6_6device18GemmSpecializationE0ELi128ELi64ELi64ELi64ELi4ELi4ELi16ELi16ELi2ELi2ENS_8SequenceIJLi4ELi32ELi1EEEENSB_IJLi1ELi0ELi2EEEESD_Li2ELi2ELi2ELb0ELi0ESC_SD_SD_Li2ELi2ELi2ELb0ELi0ELi1ELi2ENSB_IJLi1ELi32ELi1ELi4EEEELi2ELNS_26BlockGemmPipelineSchedulerE0ELNS_24BlockGemmPipelineVersionE2EddLb0ELb0ELb0ELi0ELb0EEELb1ELNS_25InMemoryDataOperationEnumE0ELi2ELNS_10TailNumberE10EEEvNT_8ArgumentE
; %bb.0:
	s_endpgm
	.section	.rodata,"a",@progbits
	.p2align	6, 0x0
	.amdhsa_kernel _ZN2ck27kernel_gemm_xdl_cshuffle_v3INS_28GridwiseGemm_xdl_cshuffle_v3INS_13tensor_layout4gemm8RowMajorENS3_11ColumnMajorES4_dddddNS_16tensor_operation12element_wise11PassThroughES8_S8_LNS6_6device18GemmSpecializationE0ELi128ELi64ELi64ELi64ELi4ELi4ELi16ELi16ELi2ELi2ENS_8SequenceIJLi4ELi32ELi1EEEENSB_IJLi1ELi0ELi2EEEESD_Li2ELi2ELi2ELb0ELi0ESC_SD_SD_Li2ELi2ELi2ELb0ELi0ELi1ELi2ENSB_IJLi1ELi32ELi1ELi4EEEELi2ELNS_26BlockGemmPipelineSchedulerE0ELNS_24BlockGemmPipelineVersionE2EddLb0ELb0ELb0ELi0ELb0EEELb1ELNS_25InMemoryDataOperationEnumE0ELi2ELNS_10TailNumberE10EEEvNT_8ArgumentE
		.amdhsa_group_segment_fixed_size 0
		.amdhsa_private_segment_fixed_size 0
		.amdhsa_kernarg_size 112
		.amdhsa_user_sgpr_count 2
		.amdhsa_user_sgpr_dispatch_ptr 0
		.amdhsa_user_sgpr_queue_ptr 0
		.amdhsa_user_sgpr_kernarg_segment_ptr 1
		.amdhsa_user_sgpr_dispatch_id 0
		.amdhsa_user_sgpr_kernarg_preload_length 0
		.amdhsa_user_sgpr_kernarg_preload_offset 0
		.amdhsa_user_sgpr_private_segment_size 0
		.amdhsa_uses_dynamic_stack 0
		.amdhsa_enable_private_segment 0
		.amdhsa_system_sgpr_workgroup_id_x 1
		.amdhsa_system_sgpr_workgroup_id_y 0
		.amdhsa_system_sgpr_workgroup_id_z 0
		.amdhsa_system_sgpr_workgroup_info 0
		.amdhsa_system_vgpr_workitem_id 0
		.amdhsa_next_free_vgpr 1
		.amdhsa_next_free_sgpr 0
		.amdhsa_accum_offset 4
		.amdhsa_reserve_vcc 0
		.amdhsa_float_round_mode_32 0
		.amdhsa_float_round_mode_16_64 0
		.amdhsa_float_denorm_mode_32 3
		.amdhsa_float_denorm_mode_16_64 3
		.amdhsa_dx10_clamp 1
		.amdhsa_ieee_mode 1
		.amdhsa_fp16_overflow 0
		.amdhsa_tg_split 0
		.amdhsa_exception_fp_ieee_invalid_op 0
		.amdhsa_exception_fp_denorm_src 0
		.amdhsa_exception_fp_ieee_div_zero 0
		.amdhsa_exception_fp_ieee_overflow 0
		.amdhsa_exception_fp_ieee_underflow 0
		.amdhsa_exception_fp_ieee_inexact 0
		.amdhsa_exception_int_div_zero 0
	.end_amdhsa_kernel
	.section	.text._ZN2ck27kernel_gemm_xdl_cshuffle_v3INS_28GridwiseGemm_xdl_cshuffle_v3INS_13tensor_layout4gemm8RowMajorENS3_11ColumnMajorES4_dddddNS_16tensor_operation12element_wise11PassThroughES8_S8_LNS6_6device18GemmSpecializationE0ELi128ELi64ELi64ELi64ELi4ELi4ELi16ELi16ELi2ELi2ENS_8SequenceIJLi4ELi32ELi1EEEENSB_IJLi1ELi0ELi2EEEESD_Li2ELi2ELi2ELb0ELi0ESC_SD_SD_Li2ELi2ELi2ELb0ELi0ELi1ELi2ENSB_IJLi1ELi32ELi1ELi4EEEELi2ELNS_26BlockGemmPipelineSchedulerE0ELNS_24BlockGemmPipelineVersionE2EddLb0ELb0ELb0ELi0ELb0EEELb1ELNS_25InMemoryDataOperationEnumE0ELi2ELNS_10TailNumberE10EEEvNT_8ArgumentE,"axG",@progbits,_ZN2ck27kernel_gemm_xdl_cshuffle_v3INS_28GridwiseGemm_xdl_cshuffle_v3INS_13tensor_layout4gemm8RowMajorENS3_11ColumnMajorES4_dddddNS_16tensor_operation12element_wise11PassThroughES8_S8_LNS6_6device18GemmSpecializationE0ELi128ELi64ELi64ELi64ELi4ELi4ELi16ELi16ELi2ELi2ENS_8SequenceIJLi4ELi32ELi1EEEENSB_IJLi1ELi0ELi2EEEESD_Li2ELi2ELi2ELb0ELi0ESC_SD_SD_Li2ELi2ELi2ELb0ELi0ELi1ELi2ENSB_IJLi1ELi32ELi1ELi4EEEELi2ELNS_26BlockGemmPipelineSchedulerE0ELNS_24BlockGemmPipelineVersionE2EddLb0ELb0ELb0ELi0ELb0EEELb1ELNS_25InMemoryDataOperationEnumE0ELi2ELNS_10TailNumberE10EEEvNT_8ArgumentE,comdat
.Lfunc_end4:
	.size	_ZN2ck27kernel_gemm_xdl_cshuffle_v3INS_28GridwiseGemm_xdl_cshuffle_v3INS_13tensor_layout4gemm8RowMajorENS3_11ColumnMajorES4_dddddNS_16tensor_operation12element_wise11PassThroughES8_S8_LNS6_6device18GemmSpecializationE0ELi128ELi64ELi64ELi64ELi4ELi4ELi16ELi16ELi2ELi2ENS_8SequenceIJLi4ELi32ELi1EEEENSB_IJLi1ELi0ELi2EEEESD_Li2ELi2ELi2ELb0ELi0ESC_SD_SD_Li2ELi2ELi2ELb0ELi0ELi1ELi2ENSB_IJLi1ELi32ELi1ELi4EEEELi2ELNS_26BlockGemmPipelineSchedulerE0ELNS_24BlockGemmPipelineVersionE2EddLb0ELb0ELb0ELi0ELb0EEELb1ELNS_25InMemoryDataOperationEnumE0ELi2ELNS_10TailNumberE10EEEvNT_8ArgumentE, .Lfunc_end4-_ZN2ck27kernel_gemm_xdl_cshuffle_v3INS_28GridwiseGemm_xdl_cshuffle_v3INS_13tensor_layout4gemm8RowMajorENS3_11ColumnMajorES4_dddddNS_16tensor_operation12element_wise11PassThroughES8_S8_LNS6_6device18GemmSpecializationE0ELi128ELi64ELi64ELi64ELi4ELi4ELi16ELi16ELi2ELi2ENS_8SequenceIJLi4ELi32ELi1EEEENSB_IJLi1ELi0ELi2EEEESD_Li2ELi2ELi2ELb0ELi0ESC_SD_SD_Li2ELi2ELi2ELb0ELi0ELi1ELi2ENSB_IJLi1ELi32ELi1ELi4EEEELi2ELNS_26BlockGemmPipelineSchedulerE0ELNS_24BlockGemmPipelineVersionE2EddLb0ELb0ELb0ELi0ELb0EEELb1ELNS_25InMemoryDataOperationEnumE0ELi2ELNS_10TailNumberE10EEEvNT_8ArgumentE
                                        ; -- End function
	.section	.AMDGPU.csdata,"",@progbits
; Kernel info:
; codeLenInByte = 4
; NumSgprs: 6
; NumVgprs: 0
; NumAgprs: 0
; TotalNumVgprs: 0
; ScratchSize: 0
; MemoryBound: 0
; FloatMode: 240
; IeeeMode: 1
; LDSByteSize: 0 bytes/workgroup (compile time only)
; SGPRBlocks: 0
; VGPRBlocks: 0
; NumSGPRsForWavesPerEU: 6
; NumVGPRsForWavesPerEU: 1
; AccumOffset: 4
; Occupancy: 8
; WaveLimiterHint : 0
; COMPUTE_PGM_RSRC2:SCRATCH_EN: 0
; COMPUTE_PGM_RSRC2:USER_SGPR: 2
; COMPUTE_PGM_RSRC2:TRAP_HANDLER: 0
; COMPUTE_PGM_RSRC2:TGID_X_EN: 1
; COMPUTE_PGM_RSRC2:TGID_Y_EN: 0
; COMPUTE_PGM_RSRC2:TGID_Z_EN: 0
; COMPUTE_PGM_RSRC2:TIDIG_COMP_CNT: 0
; COMPUTE_PGM_RSRC3_GFX90A:ACCUM_OFFSET: 0
; COMPUTE_PGM_RSRC3_GFX90A:TG_SPLIT: 0
	.text
	.p2alignl 6, 3212836864
	.fill 256, 4, 3212836864
	.type	__hip_cuid_d05192f9634b37ab,@object ; @__hip_cuid_d05192f9634b37ab
	.section	.bss,"aw",@nobits
	.globl	__hip_cuid_d05192f9634b37ab
__hip_cuid_d05192f9634b37ab:
	.byte	0                               ; 0x0
	.size	__hip_cuid_d05192f9634b37ab, 1

	.ident	"AMD clang version 19.0.0git (https://github.com/RadeonOpenCompute/llvm-project roc-6.4.0 25133 c7fe45cf4b819c5991fe208aaa96edf142730f1d)"
	.section	".note.GNU-stack","",@progbits
	.addrsig
	.addrsig_sym __hip_cuid_d05192f9634b37ab
	.amdgpu_metadata
---
amdhsa.kernels:
  - .agpr_count:     0
    .args:           []
    .group_segment_fixed_size: 0
    .kernarg_segment_align: 4
    .kernarg_segment_size: 0
    .language:       OpenCL C
    .language_version:
      - 2
      - 0
    .max_flat_workgroup_size: 1024
    .name:           _ZN2ckL12flush_icacheEv
    .private_segment_fixed_size: 0
    .sgpr_count:     6
    .sgpr_spill_count: 0
    .symbol:         _ZN2ckL12flush_icacheEv.kd
    .uniform_work_group_size: 1
    .uses_dynamic_stack: false
    .vgpr_count:     0
    .vgpr_spill_count: 0
    .wavefront_size: 64
  - .agpr_count:     0
    .args:
      - .offset:         0
        .size:           112
        .value_kind:     by_value
    .group_segment_fixed_size: 65536
    .kernarg_segment_align: 8
    .kernarg_segment_size: 112
    .language:       OpenCL C
    .language_version:
      - 2
      - 0
    .max_flat_workgroup_size: 128
    .name:           _ZN2ck27kernel_gemm_xdl_cshuffle_v3INS_28GridwiseGemm_xdl_cshuffle_v3INS_13tensor_layout4gemm8RowMajorENS3_11ColumnMajorES4_dddddNS_16tensor_operation12element_wise11PassThroughES8_S8_LNS6_6device18GemmSpecializationE0ELi128ELi64ELi64ELi64ELi4ELi4ELi16ELi16ELi2ELi4ENS_8SequenceIJLi4ELi32ELi1EEEENSB_IJLi1ELi0ELi2EEEESD_Li2ELi2ELi2ELb0ELi0ESC_SD_SD_Li2ELi2ELi2ELb0ELi0ELi1ELi2ENSB_IJLi1ELi32ELi1ELi4EEEELi2ELNS_26BlockGemmPipelineSchedulerE0ELNS_24BlockGemmPipelineVersionE2EddLb0ELb0ELb0ELi0ELb0EEELb1ELNS_25InMemoryDataOperationEnumE1ELi2ELNS_10TailNumberE10EEEvNT_8ArgumentE
    .private_segment_fixed_size: 804
    .sgpr_count:     33
    .sgpr_spill_count: 0
    .symbol:         _ZN2ck27kernel_gemm_xdl_cshuffle_v3INS_28GridwiseGemm_xdl_cshuffle_v3INS_13tensor_layout4gemm8RowMajorENS3_11ColumnMajorES4_dddddNS_16tensor_operation12element_wise11PassThroughES8_S8_LNS6_6device18GemmSpecializationE0ELi128ELi64ELi64ELi64ELi4ELi4ELi16ELi16ELi2ELi4ENS_8SequenceIJLi4ELi32ELi1EEEENSB_IJLi1ELi0ELi2EEEESD_Li2ELi2ELi2ELb0ELi0ESC_SD_SD_Li2ELi2ELi2ELb0ELi0ELi1ELi2ENSB_IJLi1ELi32ELi1ELi4EEEELi2ELNS_26BlockGemmPipelineSchedulerE0ELNS_24BlockGemmPipelineVersionE2EddLb0ELb0ELb0ELi0ELb0EEELb1ELNS_25InMemoryDataOperationEnumE1ELi2ELNS_10TailNumberE10EEEvNT_8ArgumentE.kd
    .uniform_work_group_size: 1
    .uses_dynamic_stack: false
    .vgpr_count:     256
    .vgpr_spill_count: 360
    .wavefront_size: 64
  - .agpr_count:     0
    .args:
      - .offset:         0
        .size:           112
        .value_kind:     by_value
    .group_segment_fixed_size: 65536
    .kernarg_segment_align: 8
    .kernarg_segment_size: 112
    .language:       OpenCL C
    .language_version:
      - 2
      - 0
    .max_flat_workgroup_size: 128
    .name:           _ZN2ck27kernel_gemm_xdl_cshuffle_v3INS_28GridwiseGemm_xdl_cshuffle_v3INS_13tensor_layout4gemm8RowMajorENS3_11ColumnMajorES4_dddddNS_16tensor_operation12element_wise11PassThroughES8_S8_LNS6_6device18GemmSpecializationE0ELi128ELi64ELi64ELi64ELi4ELi4ELi16ELi16ELi2ELi4ENS_8SequenceIJLi4ELi32ELi1EEEENSB_IJLi1ELi0ELi2EEEESD_Li2ELi2ELi2ELb0ELi0ESC_SD_SD_Li2ELi2ELi2ELb0ELi0ELi1ELi2ENSB_IJLi1ELi32ELi1ELi4EEEELi2ELNS_26BlockGemmPipelineSchedulerE0ELNS_24BlockGemmPipelineVersionE2EddLb0ELb0ELb0ELi0ELb0EEELb1ELNS_25InMemoryDataOperationEnumE0ELi2ELNS_10TailNumberE10EEEvNT_8ArgumentE
    .private_segment_fixed_size: 788
    .sgpr_count:     34
    .sgpr_spill_count: 0
    .symbol:         _ZN2ck27kernel_gemm_xdl_cshuffle_v3INS_28GridwiseGemm_xdl_cshuffle_v3INS_13tensor_layout4gemm8RowMajorENS3_11ColumnMajorES4_dddddNS_16tensor_operation12element_wise11PassThroughES8_S8_LNS6_6device18GemmSpecializationE0ELi128ELi64ELi64ELi64ELi4ELi4ELi16ELi16ELi2ELi4ENS_8SequenceIJLi4ELi32ELi1EEEENSB_IJLi1ELi0ELi2EEEESD_Li2ELi2ELi2ELb0ELi0ESC_SD_SD_Li2ELi2ELi2ELb0ELi0ELi1ELi2ENSB_IJLi1ELi32ELi1ELi4EEEELi2ELNS_26BlockGemmPipelineSchedulerE0ELNS_24BlockGemmPipelineVersionE2EddLb0ELb0ELb0ELi0ELb0EEELb1ELNS_25InMemoryDataOperationEnumE0ELi2ELNS_10TailNumberE10EEEvNT_8ArgumentE.kd
    .uniform_work_group_size: 1
    .uses_dynamic_stack: false
    .vgpr_count:     256
    .vgpr_spill_count: 344
    .wavefront_size: 64
  - .agpr_count:     0
    .args:
      - .offset:         0
        .size:           112
        .value_kind:     by_value
    .group_segment_fixed_size: 0
    .kernarg_segment_align: 8
    .kernarg_segment_size: 112
    .language:       OpenCL C
    .language_version:
      - 2
      - 0
    .max_flat_workgroup_size: 128
    .name:           _ZN2ck27kernel_gemm_xdl_cshuffle_v3INS_28GridwiseGemm_xdl_cshuffle_v3INS_13tensor_layout4gemm8RowMajorENS3_11ColumnMajorES4_dddddNS_16tensor_operation12element_wise11PassThroughES8_S8_LNS6_6device18GemmSpecializationE0ELi128ELi64ELi64ELi64ELi4ELi4ELi16ELi16ELi2ELi2ENS_8SequenceIJLi4ELi32ELi1EEEENSB_IJLi1ELi0ELi2EEEESD_Li2ELi2ELi2ELb0ELi0ESC_SD_SD_Li2ELi2ELi2ELb0ELi0ELi1ELi2ENSB_IJLi1ELi32ELi1ELi4EEEELi2ELNS_26BlockGemmPipelineSchedulerE0ELNS_24BlockGemmPipelineVersionE2EddLb0ELb0ELb0ELi0ELb0EEELb1ELNS_25InMemoryDataOperationEnumE1ELi2ELNS_10TailNumberE10EEEvNT_8ArgumentE
    .private_segment_fixed_size: 0
    .sgpr_count:     6
    .sgpr_spill_count: 0
    .symbol:         _ZN2ck27kernel_gemm_xdl_cshuffle_v3INS_28GridwiseGemm_xdl_cshuffle_v3INS_13tensor_layout4gemm8RowMajorENS3_11ColumnMajorES4_dddddNS_16tensor_operation12element_wise11PassThroughES8_S8_LNS6_6device18GemmSpecializationE0ELi128ELi64ELi64ELi64ELi4ELi4ELi16ELi16ELi2ELi2ENS_8SequenceIJLi4ELi32ELi1EEEENSB_IJLi1ELi0ELi2EEEESD_Li2ELi2ELi2ELb0ELi0ESC_SD_SD_Li2ELi2ELi2ELb0ELi0ELi1ELi2ENSB_IJLi1ELi32ELi1ELi4EEEELi2ELNS_26BlockGemmPipelineSchedulerE0ELNS_24BlockGemmPipelineVersionE2EddLb0ELb0ELb0ELi0ELb0EEELb1ELNS_25InMemoryDataOperationEnumE1ELi2ELNS_10TailNumberE10EEEvNT_8ArgumentE.kd
    .uniform_work_group_size: 1
    .uses_dynamic_stack: false
    .vgpr_count:     0
    .vgpr_spill_count: 0
    .wavefront_size: 64
  - .agpr_count:     0
    .args:
      - .offset:         0
        .size:           112
        .value_kind:     by_value
    .group_segment_fixed_size: 0
    .kernarg_segment_align: 8
    .kernarg_segment_size: 112
    .language:       OpenCL C
    .language_version:
      - 2
      - 0
    .max_flat_workgroup_size: 128
    .name:           _ZN2ck27kernel_gemm_xdl_cshuffle_v3INS_28GridwiseGemm_xdl_cshuffle_v3INS_13tensor_layout4gemm8RowMajorENS3_11ColumnMajorES4_dddddNS_16tensor_operation12element_wise11PassThroughES8_S8_LNS6_6device18GemmSpecializationE0ELi128ELi64ELi64ELi64ELi4ELi4ELi16ELi16ELi2ELi2ENS_8SequenceIJLi4ELi32ELi1EEEENSB_IJLi1ELi0ELi2EEEESD_Li2ELi2ELi2ELb0ELi0ESC_SD_SD_Li2ELi2ELi2ELb0ELi0ELi1ELi2ENSB_IJLi1ELi32ELi1ELi4EEEELi2ELNS_26BlockGemmPipelineSchedulerE0ELNS_24BlockGemmPipelineVersionE2EddLb0ELb0ELb0ELi0ELb0EEELb1ELNS_25InMemoryDataOperationEnumE0ELi2ELNS_10TailNumberE10EEEvNT_8ArgumentE
    .private_segment_fixed_size: 0
    .sgpr_count:     6
    .sgpr_spill_count: 0
    .symbol:         _ZN2ck27kernel_gemm_xdl_cshuffle_v3INS_28GridwiseGemm_xdl_cshuffle_v3INS_13tensor_layout4gemm8RowMajorENS3_11ColumnMajorES4_dddddNS_16tensor_operation12element_wise11PassThroughES8_S8_LNS6_6device18GemmSpecializationE0ELi128ELi64ELi64ELi64ELi4ELi4ELi16ELi16ELi2ELi2ENS_8SequenceIJLi4ELi32ELi1EEEENSB_IJLi1ELi0ELi2EEEESD_Li2ELi2ELi2ELb0ELi0ESC_SD_SD_Li2ELi2ELi2ELb0ELi0ELi1ELi2ENSB_IJLi1ELi32ELi1ELi4EEEELi2ELNS_26BlockGemmPipelineSchedulerE0ELNS_24BlockGemmPipelineVersionE2EddLb0ELb0ELb0ELi0ELb0EEELb1ELNS_25InMemoryDataOperationEnumE0ELi2ELNS_10TailNumberE10EEEvNT_8ArgumentE.kd
    .uniform_work_group_size: 1
    .uses_dynamic_stack: false
    .vgpr_count:     0
    .vgpr_spill_count: 0
    .wavefront_size: 64
amdhsa.target:   amdgcn-amd-amdhsa--gfx942
amdhsa.version:
  - 1
  - 2
...

	.end_amdgpu_metadata
